;; amdgpu-corpus repo=ROCm/rocFFT kind=compiled arch=gfx1201 opt=O3
	.text
	.amdgcn_target "amdgcn-amd-amdhsa--gfx1201"
	.amdhsa_code_object_version 6
	.protected	bluestein_single_fwd_len17_dim1_half_op_CI_CI ; -- Begin function bluestein_single_fwd_len17_dim1_half_op_CI_CI
	.globl	bluestein_single_fwd_len17_dim1_half_op_CI_CI
	.p2align	8
	.type	bluestein_single_fwd_len17_dim1_half_op_CI_CI,@function
bluestein_single_fwd_len17_dim1_half_op_CI_CI: ; @bluestein_single_fwd_len17_dim1_half_op_CI_CI
; %bb.0:
	s_load_b128 s[12:15], s[0:1], 0x28
	v_mad_co_u64_u32 v[20:21], null, 0x78, ttmp9, v[0:1]
	v_mov_b32_e32 v21, 0
	s_mov_b32 s2, exec_lo
	s_wait_kmcnt 0x0
	s_delay_alu instid0(VALU_DEP_1)
	v_cmpx_gt_u64_e64 s[12:13], v[20:21]
	s_cbranch_execz .LBB0_2
; %bb.1:
	s_clause 0x1
	s_load_b128 s[4:7], s[0:1], 0x18
	s_load_b64 s[2:3], s[0:1], 0x0
	s_wait_kmcnt 0x0
	s_load_b128 s[8:11], s[4:5], 0x0
	s_wait_kmcnt 0x0
	v_mad_co_u64_u32 v[22:23], null, s10, v20, 0
	s_lshl_b64 s[4:5], s[8:9], 2
	s_lshl_b64 s[12:13], s[8:9], 4
	;; [unrolled: 1-line block ×3, first 2 shown]
	s_delay_alu instid0(VALU_DEP_1) | instskip(NEXT) | instid1(VALU_DEP_1)
	v_mov_b32_e32 v0, v23
	v_mad_co_u64_u32 v[0:1], null, s11, v20, v[0:1]
	s_lshl_b64 s[10:11], s[8:9], 3
	s_delay_alu instid0(VALU_DEP_1)
	v_mov_b32_e32 v23, v0
	s_clause 0x4
	global_load_b128 v[16:19], v21, s[2:3]
	global_load_b128 v[12:15], v21, s[2:3] offset:16
	global_load_b128 v[8:11], v21, s[2:3] offset:32
	;; [unrolled: 1-line block ×4, first 2 shown]
	v_lshlrev_b64_e32 v[22:23], 2, v[22:23]
	s_delay_alu instid0(VALU_DEP_1) | instskip(NEXT) | instid1(VALU_DEP_2)
	v_add_co_u32 v22, vcc_lo, s14, v22
	v_add_co_ci_u32_e32 v23, vcc_lo, s15, v23, vcc_lo
	s_lshl_b64 s[14:15], s[8:9], 6
	s_delay_alu instid0(VALU_DEP_2) | instskip(SKIP_1) | instid1(VALU_DEP_2)
	v_add_co_u32 v24, vcc_lo, v22, s4
	s_wait_alu 0xfffd
	v_add_co_ci_u32_e32 v25, vcc_lo, s5, v23, vcc_lo
	s_wait_alu 0xfffe
	v_add_co_u32 v26, vcc_lo, v22, s10
	s_wait_alu 0xfffd
	v_add_co_ci_u32_e32 v27, vcc_lo, s11, v23, vcc_lo
	v_mad_co_u64_u32 v[28:29], null, s8, 12, v[22:23]
	v_add_co_u32 v30, vcc_lo, v22, s12
	v_mad_co_u64_u32 v[32:33], null, s8, 20, v[22:23]
	v_mad_co_u64_u32 v[34:35], null, s8, 24, v[22:23]
	;; [unrolled: 1-line block ×3, first 2 shown]
	s_wait_alu 0xfffd
	v_add_co_ci_u32_e32 v31, vcc_lo, s13, v23, vcc_lo
	v_mad_co_u64_u32 v[40:41], null, s8, 36, v[22:23]
	v_add_co_u32 v38, vcc_lo, v22, s16
	s_wait_alu 0xfffd
	v_add_co_ci_u32_e32 v39, vcc_lo, s17, v23, vcc_lo
	v_mad_co_u64_u32 v[42:43], null, s8, 40, v[22:23]
	v_mad_co_u64_u32 v[52:53], null, s8, 60, v[22:23]
	v_mad_co_u64_u32 v[44:45], null, s8, 44, v[22:23]
	v_mad_co_u64_u32 v[46:47], null, s8, 48, v[22:23]
	v_add_co_u32 v54, vcc_lo, v22, s14
	v_mad_co_u64_u32 v[48:49], null, s8, 52, v[22:23]
	v_mad_co_u64_u32 v[50:51], null, s8, 56, v[22:23]
	s_wait_alu 0xfffd
	v_add_co_ci_u32_e32 v55, vcc_lo, s15, v23, vcc_lo
	s_clause 0x5
	global_load_b32 v57, v[22:23], off
	global_load_b32 v58, v[24:25], off
	;; [unrolled: 1-line block ×6, first 2 shown]
	v_dual_mov_b32 v22, v29 :: v_dual_mov_b32 v23, v33
	v_dual_mov_b32 v24, v35 :: v_dual_mov_b32 v25, v37
	v_dual_mov_b32 v26, v41 :: v_dual_mov_b32 v27, v43
	v_mov_b32_e32 v39, v53
	s_delay_alu instid0(VALU_DEP_4) | instskip(NEXT) | instid1(VALU_DEP_4)
	v_mad_co_u64_u32 v[53:54], null, s9, 12, v[22:23]
	v_mad_co_u64_u32 v[22:23], null, s9, 20, v[23:24]
	v_dual_mov_b32 v29, v45 :: v_dual_mov_b32 v30, v47
	v_mad_co_u64_u32 v[23:24], null, s9, 24, v[24:25]
	v_mad_co_u64_u32 v[24:25], null, s9, 28, v[25:26]
	v_dual_mov_b32 v31, v49 :: v_dual_mov_b32 v38, v51
	v_mad_co_u64_u32 v[25:26], null, s9, 36, v[26:27]
	v_mad_co_u64_u32 v[26:27], null, s9, 40, v[27:28]
	;; [unrolled: 1-line block ×3, first 2 shown]
	v_mov_b32_e32 v29, v53
	v_mad_co_u64_u32 v[55:56], null, s9, 48, v[30:31]
	v_mov_b32_e32 v33, v22
	v_mov_b32_e32 v35, v23
	v_mad_co_u64_u32 v[30:31], null, s9, 52, v[31:32]
	v_mov_b32_e32 v37, v24
	v_mad_co_u64_u32 v[22:23], null, s9, 56, v[38:39]
	v_mad_co_u64_u32 v[23:24], null, s9, 60, v[39:40]
	v_mov_b32_e32 v41, v25
	v_mov_b32_e32 v45, v54
	;; [unrolled: 1-line block ×5, first 2 shown]
	v_mul_hi_u32 v31, 0x88888889, v20
	v_mov_b32_e32 v53, v23
	s_mov_b32 s8, 0x1e1e1e1e
	s_mov_b32 s9, 0x3fae1e1e
	s_delay_alu instid0(VALU_DEP_2) | instskip(NEXT) | instid1(VALU_DEP_1)
	v_lshrrev_b32_e32 v31, 6, v31
	v_mul_lo_u32 v31, 0x78, v31
	s_delay_alu instid0(VALU_DEP_1)
	v_sub_nc_u32_e32 v31, v20, v31
	s_wait_loadcnt 0x9
	v_and_b32_e32 v54, 0xffff, v14
	global_load_b32 v27, v[28:29], off
	s_wait_loadcnt 0x9
	v_lshrrev_b32_e32 v38, 16, v10
	v_dual_mov_b32 v43, v26 :: v_dual_and_b32 v56, 0xffff, v10
	global_load_b32 v28, v[32:33], off
	s_wait_loadcnt 0x9
	v_and_b32_e32 v64, 0xffff, v6
	v_and_b32_e32 v70, 0xffff, v38
	s_clause 0x1
	global_load_b32 v25, v[34:35], off
	global_load_b32 v29, v[36:37], off
	v_lshrrev_b32_e32 v34, 16, v6
	global_load_b32 v24, v[40:41], off
	v_mul_u32_u24_e32 v32, 0x44, v31
	s_wait_loadcnt 0xb
	v_lshrrev_b32_e32 v31, 16, v0
	v_lshrrev_b32_e32 v40, 16, v8
	v_and_b32_e32 v72, 0xffff, v34
	s_clause 0x5
	global_load_b32 v26, v[42:43], off
	global_load_b32 v30, v[44:45], off
	;; [unrolled: 1-line block ×6, first 2 shown]
	v_lshrrev_b32_e32 v48, 16, v16
	v_lshrrev_b32_e32 v47, 16, v17
	v_and_b32_e32 v51, 0xffff, v16
	v_lshrrev_b32_e32 v46, 16, v18
	v_lshrrev_b32_e32 v44, 16, v12
	v_and_b32_e32 v65, 0xffff, v48
	v_lshrrev_b32_e32 v42, 16, v14
	v_lshl_or_b32 v51, v17, 16, v51
	v_lshrrev_b32_e32 v36, 16, v4
	v_lshrrev_b32_e32 v45, 16, v19
	v_lshl_or_b32 v65, v47, 16, v65
	v_and_b32_e32 v52, 0xffff, v18
	v_lshrrev_b32_e32 v43, 16, v13
	v_lshrrev_b32_e32 v39, 16, v9
	v_and_b32_e32 v66, 0xffff, v46
	v_and_b32_e32 v67, 0xffff, v44
	;; [unrolled: 1-line block ×3, first 2 shown]
	v_lshrrev_b32_e32 v41, 16, v15
	v_and_b32_e32 v53, 0xffff, v12
	v_lshrrev_b32_e32 v37, 16, v11
	v_and_b32_e32 v68, 0xffff, v42
	v_and_b32_e32 v55, 0xffff, v8
	v_lshrrev_b32_e32 v35, 16, v5
	v_and_b32_e32 v63, 0xffff, v4
	v_and_b32_e32 v71, 0xffff, v36
	v_lshrrev_b32_e32 v33, 16, v7
	v_lshl_or_b32 v52, v19, 16, v52
	v_lshl_or_b32 v66, v45, 16, v66
	;; [unrolled: 1-line block ×12, first 2 shown]
	s_wait_loadcnt 0x10
	v_lshrrev_b32_e32 v73, 16, v57
	s_wait_loadcnt 0xf
	v_bfi_b32 v75, 0xffff, v57, v58
	v_lshrrev_b32_e32 v74, 16, v58
	v_alignbit_b32 v76, v58, v57, 16
	v_mul_f16_e32 v58, v47, v58
	s_wait_loadcnt 0xb
	v_lshrrev_b32_e32 v80, 16, v62
	v_mul_f16_e32 v73, v48, v73
	v_lshrrev_b32_e32 v77, 16, v59
	v_mul_f16_e32 v81, v31, v62
	v_pk_mul_f16 v65, v65, v75
	v_mul_f16_e32 v75, v31, v80
	v_fmac_f16_e32 v73, v16, v57
	v_pk_mul_f16 v57, v51, v76
	v_fma_f16 v58, v17, v74, -v58
	v_mul_f16_e32 v74, v46, v77
	v_fma_f16 v77, v0, v80, -v81
	v_fmac_f16_e32 v75, v0, v62
	v_lshrrev_b32_e32 v78, 16, v60
	v_lshrrev_b32_e32 v79, 16, v61
	v_pk_fma_f16 v51, v51, v76, v65
	v_sub_f16_e32 v57, v57, v65
	v_pack_b32_f16 v65, v75, v77
	v_mul_f16_e32 v78, v44, v78
	v_mul_f16_e32 v62, v40, v79
	v_fmac_f16_e32 v74, v18, v59
	v_alignbit_b32 v51, v58, v51, 16
	ds_store_b32 v32, v65 offset:64
	v_fmac_f16_e32 v78, v12, v60
	v_pack_b32_f16 v57, v73, v57
	v_fmac_f16_e32 v62, v8, v61
	v_lshl_or_b32 v64, v7, 16, v64
	v_lshl_or_b32 v72, v33, 16, v72
	s_load_b128 s[4:7], s[6:7], 0x0
	s_wait_loadcnt 0xa
	v_lshrrev_b32_e32 v58, 16, v27
	v_bfi_b32 v65, 0xffff, v59, v27
	v_alignbit_b32 v59, v27, v59, 16
	v_mul_f16_e32 v27, v45, v27
	s_wait_loadcnt 0x9
	v_bfi_b32 v75, 0xffff, v60, v28
	v_alignbit_b32 v60, v28, v60, 16
	v_lshrrev_b32_e32 v73, 16, v28
	s_wait_loadcnt 0x7
	v_bfi_b32 v79, 0xffff, v25, v29
	v_mul_f16_e32 v28, v43, v28
	s_wait_loadcnt 0x6
	v_bfi_b32 v82, 0xffff, v61, v24
	v_lshrrev_b32_e32 v76, 16, v25
	v_alignbit_b32 v80, v29, v25, 16
	v_lshrrev_b32_e32 v77, 16, v29
	v_mul_f16_e32 v29, v41, v29
	s_wait_loadcnt 0x4
	v_bfi_b32 v85, 0xffff, v26, v30
	v_lshrrev_b32_e32 v81, 16, v24
	v_alignbit_b32 v61, v24, v61, 16
	v_mul_f16_e32 v24, v39, v24
	v_lshrrev_b32_e32 v83, 16, v26
	s_wait_loadcnt 0x3
	v_lshrrev_b32_e32 v87, 16, v22
	s_wait_loadcnt 0x2
	v_bfi_b32 v89, 0xffff, v22, v23
	v_alignbit_b32 v90, v23, v22, 16
	v_lshrrev_b32_e32 v84, 16, v30
	v_alignbit_b32 v86, v30, v26, 16
	v_mul_f16_e32 v30, v37, v30
	s_wait_loadcnt 0x1
	v_lshrrev_b32_e32 v91, 16, v49
	s_wait_loadcnt 0x0
	v_bfi_b32 v93, 0xffff, v49, v50
	v_alignbit_b32 v94, v50, v49, 16
	v_pk_mul_f16 v65, v66, v65
	v_fma_f16 v27, v19, v58, -v27
	v_pk_mul_f16 v58, v67, v75
	v_pk_mul_f16 v67, v69, v82
	v_pk_mul_f16 v69, v52, v59
	v_pk_mul_f16 v66, v68, v79
	v_pk_mul_f16 v68, v70, v85
	v_pk_mul_f16 v70, v53, v60
	v_fma_f16 v28, v13, v73, -v28
	v_mul_f16_e32 v73, v42, v76
	v_pk_mul_f16 v75, v54, v80
	v_lshrrev_b32_e32 v88, 16, v23
	v_mul_f16_e32 v23, v35, v23
	v_fma_f16 v29, v15, v77, -v29
	v_fma_f16 v24, v9, v81, -v24
	v_pk_mul_f16 v71, v71, v89
	v_pk_mul_f16 v76, v55, v61
	v_mul_f16_e32 v77, v38, v83
	v_mul_f16_e32 v81, v36, v87
	v_pk_mul_f16 v82, v63, v90
	v_lshrrev_b32_e32 v92, 16, v50
	v_mul_f16_e32 v50, v33, v50
	v_fma_f16 v30, v11, v84, -v30
	v_pk_mul_f16 v72, v72, v93
	v_pk_mul_f16 v79, v56, v86
	v_mul_f16_e32 v83, v34, v91
	v_pk_mul_f16 v84, v64, v94
	v_pk_fma_f16 v52, v52, v59, v65
	v_sub_f16_e32 v59, v69, v65
	v_pk_fma_f16 v53, v53, v60, v58
	v_sub_f16_e32 v58, v70, v58
	v_fmac_f16_e32 v73, v14, v25
	v_pk_fma_f16 v25, v54, v80, v66
	v_sub_f16_e32 v54, v75, v66
	v_fma_f16 v23, v5, v88, -v23
	v_pk_fma_f16 v55, v55, v61, v67
	v_sub_f16_e32 v60, v76, v67
	v_fmac_f16_e32 v77, v10, v26
	v_pk_fma_f16 v26, v56, v86, v68
	v_fmac_f16_e32 v81, v4, v22
	v_pk_fma_f16 v22, v63, v90, v71
	v_sub_f16_e32 v61, v82, v71
	v_fma_f16 v50, v7, v92, -v50
	v_sub_f16_e32 v56, v79, v68
	v_fmac_f16_e32 v83, v6, v49
	v_pk_fma_f16 v49, v64, v94, v72
	v_sub_f16_e32 v63, v84, v72
	v_alignbit_b32 v27, v27, v52, 16
	v_pack_b32_f16 v52, v74, v59
	v_alignbit_b32 v28, v28, v53, 16
	v_pack_b32_f16 v53, v78, v58
	;; [unrolled: 2-line block ×4, first 2 shown]
	v_alignbit_b32 v26, v30, v26, 16
	v_alignbit_b32 v22, v23, v22, 16
	v_pack_b32_f16 v23, v81, v61
	v_pack_b32_f16 v30, v77, v56
	v_alignbit_b32 v49, v50, v49, 16
	v_pack_b32_f16 v50, v83, v63
	ds_store_2addr_b32 v32, v57, v51 offset1:1
	ds_store_2addr_b32 v32, v52, v27 offset0:2 offset1:3
	ds_store_2addr_b32 v32, v53, v28 offset0:4 offset1:5
	;; [unrolled: 1-line block ×7, first 2 shown]
	global_wb scope:SCOPE_SE
	s_wait_dscnt 0x0
	s_wait_kmcnt 0x0
	s_barrier_signal -1
	s_barrier_wait -1
	global_inv scope:SCOPE_SE
	ds_load_b32 v55, v32
	ds_load_2addr_b32 v[26:27], v32 offset0:1 offset1:2
	ds_load_2addr_b32 v[24:25], v32 offset0:3 offset1:4
	;; [unrolled: 1-line block ×8, first 2 shown]
	s_wait_dscnt 0x8
	v_lshrrev_b32_e32 v89, 16, v55
	s_wait_dscnt 0x7
	v_add_f16_e32 v56, v26, v55
	v_lshrrev_b32_e32 v70, 16, v27
	s_wait_dscnt 0x6
	v_lshrrev_b32_e32 v72, 16, v25
	s_wait_dscnt 0x5
	v_lshrrev_b32_e32 v73, 16, v22
	v_lshrrev_b32_e32 v69, 16, v26
	s_wait_dscnt 0x2
	v_add_f16_e32 v53, v66, v22
	s_wait_dscnt 0x1
	v_add_f16_e32 v57, v67, v25
	;; [unrolled: 2-line block ×3, first 2 shown]
	v_sub_f16_e32 v88, v27, v28
	v_add_f16_e32 v27, v56, v27
	v_sub_f16_e32 v58, v25, v67
	v_sub_f16_e32 v54, v22, v66
	v_lshrrev_b32_e32 v84, 16, v29
	v_sub_f16_e32 v86, v26, v29
	v_add_f16_e32 v27, v27, v24
	v_add_f16_e32 v85, v29, v26
	v_lshrrev_b32_e32 v75, 16, v61
	v_add_f16_e32 v56, v84, v69
	v_mul_f16_e32 v90, 0xb5c8, v86
	v_add_f16_e32 v25, v27, v25
	v_mul_f16_e32 v96, 0xb836, v86
	v_sub_f16_e32 v97, v69, v84
	v_lshrrev_b32_e32 v76, 16, v62
	v_lshrrev_b32_e32 v77, 16, v63
	v_add_f16_e32 v22, v25, v22
	v_lshrrev_b32_e32 v80, 16, v66
	v_lshrrev_b32_e32 v83, 16, v28
	v_add_f16_e32 v49, v64, v61
	v_sub_f16_e32 v50, v61, v64
	v_add_f16_e32 v22, v22, v23
	v_add_f16_e32 v26, v63, v62
	v_sub_f16_e32 v30, v62, v63
	v_mul_f16_e32 v91, 0xb964, v86
	v_mul_f16_e32 v92, 0xbb29, v86
	v_add_f16_e32 v22, v22, v61
	v_mul_f16_e32 v93, 0xbbf7, v86
	v_mul_f16_e32 v94, 0xbbb2, v86
	v_mul_f16_e32 v95, 0xba62, v86
	v_pack_b32_f16 v86, v86, v85
	v_add_f16_e32 v22, v22, v62
	v_add_f16_e32 v69, v69, v89
	v_fmamk_f16 v106, v56, 0x3b76, v90
	v_fma_f16 v27, v56, 0x3b76, -v90
	v_fmamk_f16 v109, v56, 0xbacd, v96
	v_add_f16_e32 v22, v22, v63
	v_fma_f16 v61, v56, 0xbacd, -v96
	v_mul_f16_e32 v96, 0xb5c8, v97
	v_mul_f16_e32 v110, 0xb964, v97
	;; [unrolled: 1-line block ×3, first 2 shown]
	v_add_f16_e32 v22, v22, v64
	v_mul_f16_e32 v111, 0xbbf7, v97
	v_mul_f16_e32 v112, 0xbbb2, v97
	;; [unrolled: 1-line block ×4, first 2 shown]
	v_add_f16_e32 v22, v22, v65
	v_lshrrev_b32_e32 v74, 16, v23
	v_lshrrev_b32_e32 v78, 16, v64
	;; [unrolled: 1-line block ×3, first 2 shown]
	v_add_f16_e32 v51, v65, v23
	v_add_f16_e32 v66, v22, v66
	v_sub_f16_e32 v52, v23, v65
	v_add_f16_e32 v98, v83, v70
	v_mul_f16_e32 v99, 0xb964, v88
	v_sub_f16_e32 v105, v70, v83
	v_fmamk_f16 v90, v56, 0x39e9, v91
	v_fma_f16 v91, v56, 0x39e9, -v91
	v_fmamk_f16 v107, v56, 0x3722, v92
	v_fma_f16 v25, v56, 0x3722, -v92
	;; [unrolled: 2-line block ×5, first 2 shown]
	v_pack_b32_f16 v56, v56, v97
	v_add_f16_e32 v69, v69, v70
	v_fma_f16 v70, v85, 0x3b76, -v96
	v_fmac_f16_e32 v96, 0x3b76, v85
	v_fma_f16 v64, v85, 0x39e9, -v110
	v_fmac_f16_e32 v110, 0x39e9, v85
	;; [unrolled: 2-line block ×7, first 2 shown]
	v_pk_mul_f16 v85, 0xbbddb1e1, v86
	v_add_f16_e32 v86, v106, v89
	v_add_f16_e32 v106, v27, v89
	;; [unrolled: 1-line block ×3, first 2 shown]
	v_lshrrev_b32_e32 v71, 16, v24
	v_lshrrev_b32_e32 v81, 16, v67
	v_lshrrev_b32_e32 v82, 16, v68
	v_add_f16_e32 v59, v68, v24
	v_sub_f16_e32 v60, v24, v68
	v_mul_f16_e32 v101, 0xba62, v88
	v_add_f16_e32 v90, v90, v89
	v_add_f16_e32 v91, v91, v89
	;; [unrolled: 1-line block ×13, first 2 shown]
	v_pk_fma_f16 v27, 0xb1e1bbdd, v56, v85 neg_lo:[0,1,0] neg_hi:[0,1,0]
	v_pk_fma_f16 v61, 0xb1e1bbdd, v56, v85
	v_pk_fma_f16 v56, 0xb1e1bbdd, v56, v85 neg_lo:[0,0,1] neg_hi:[0,0,1]
	v_fmamk_f16 v85, v98, 0x39e9, v99
	v_fma_f16 v95, v98, 0x39e9, -v99
	v_add_f16_e32 v69, v69, v71
	v_mul_f16_e32 v100, 0xbbf7, v88
	v_mul_f16_e32 v102, 0xb1e1, v88
	v_add_f16_e32 v85, v85, v86
	v_add_f16_e32 v86, v95, v106
	v_fma_f16 v95, v98, 0xb8d2, -v101
	v_add_f16_e32 v109, v62, v55
	v_fmamk_f16 v62, v98, 0xb8d2, v101
	v_mul_f16_e32 v103, 0x3836, v88
	v_mul_f16_e32 v104, 0x3bb2, v88
	v_add_f16_e32 v95, v95, v25
	v_add_f16_e32 v25, v69, v72
	;; [unrolled: 1-line block ×9, first 2 shown]
	v_pk_add_f16 v116, v27, v55 op_sel:[0,1] op_sel_hi:[1,0]
	v_pk_add_f16 v118, v61, v55 op_sel:[0,1] op_sel_hi:[1,0]
	v_add_f16_e32 v25, v25, v74
	v_pk_add_f16 v119, v56, v55 op_sel:[0,1] op_sel_hi:[1,0]
	v_fmamk_f16 v56, v98, 0x2de8, v100
	v_sub_f16_e32 v27, v75, v78
	v_fma_f16 v61, v98, 0x2de8, -v100
	v_add_f16_e32 v25, v25, v75
	v_add_f16_e32 v100, v62, v107
	v_fmamk_f16 v62, v98, 0xbbdd, v102
	v_fma_f16 v69, v98, 0xbbdd, -v102
	v_mul_f16_e32 v75, 0xb964, v105
	v_add_f16_e32 v25, v25, v76
	v_add_f16_e32 v24, v77, v76
	v_sub_f16_e32 v22, v76, v77
	v_add_f16_e32 v70, v70, v55
	v_add_f16_e32 v96, v96, v55
	v_add_f16_e32 v25, v25, v77
	v_add_f16_e32 v91, v61, v91
	v_add_f16_e32 v61, v80, v73
	v_add_f16_e32 v92, v62, v92
	v_sub_f16_e32 v62, v73, v80
	v_add_f16_e32 v25, v25, v78
	v_add_f16_e32 v73, v81, v72
	;; [unrolled: 1-line block ×3, first 2 shown]
	v_fmamk_f16 v93, v98, 0xbacd, v103
	v_sub_f16_e32 v72, v72, v81
	v_add_f16_e32 v25, v25, v79
	v_fma_f16 v101, v98, 0xbacd, -v103
	v_fmamk_f16 v102, v98, 0xb461, v104
	v_fma_f16 v103, v98, 0xb461, -v104
	v_mul_f16_e32 v104, 0xbbf7, v105
	v_add_f16_e32 v25, v25, v80
	v_fma_f16 v76, v87, 0x39e9, -v75
	v_fmac_f16_e32 v75, 0x39e9, v87
	v_mul_f16_e32 v78, 0x3b29, v105
	v_add_f16_e32 v28, v68, v28
	v_add_f16_e32 v25, v25, v81
	v_mul_f16_e32 v81, 0x3b29, v88
	v_add_f16_e32 v64, v64, v55
	v_add_f16_e32 v97, v97, v55
	;; [unrolled: 1-line block ×10, first 2 shown]
	v_sub_f16_e32 v56, v74, v79
	v_add_f16_e32 v74, v82, v71
	v_add_f16_e32 v94, v102, v94
	v_mul_f16_e32 v102, 0xba62, v105
	v_add_f16_e32 v66, v103, v66
	v_mul_f16_e32 v103, 0xb1e1, v105
	v_mul_f16_e32 v77, 0x3836, v105
	v_add_f16_e32 v70, v76, v70
	v_fma_f16 v76, v87, 0x2de8, -v104
	v_add_f16_e32 v75, v75, v96
	v_mul_f16_e32 v96, 0x3bb2, v105
	v_fmac_f16_e32 v104, 0x2de8, v87
	v_add_f16_e32 v28, v28, v29
	v_fma_f16 v29, v87, 0x3722, -v78
	v_sub_f16_e32 v71, v71, v82
	v_add_f16_e32 v25, v25, v84
	v_pack_b32_f16 v83, v88, v87
	v_fmamk_f16 v84, v98, 0x3722, v81
	v_fmac_f16_e32 v78, 0x3722, v87
	v_fma_f16 v81, v98, 0x3722, -v81
	v_add_f16_e32 v64, v76, v64
	v_fma_f16 v76, v87, 0xb8d2, -v102
	v_fmac_f16_e32 v102, 0xb8d2, v87
	v_fma_f16 v79, v87, 0xbbdd, -v103
	v_fmac_f16_e32 v103, 0xbbdd, v87
	v_add_f16_e32 v99, v104, v99
	v_fma_f16 v104, v87, 0xbacd, -v77
	v_fmac_f16_e32 v77, 0xbacd, v87
	v_fma_f16 v80, v87, 0xb461, -v96
	v_fmac_f16_e32 v96, 0xb461, v87
	v_pack_b32_f16 v88, v98, v105
	v_and_b32_e32 v28, 0xffff, v28
	v_lshlrev_b32_e32 v25, 16, v25
	v_pk_mul_f16 v83, 0x3b7635c8, v83
	v_mul_f16_e32 v87, 0xbb29, v71
	v_add_f16_e32 v63, v78, v63
	v_add_f16_e32 v78, v81, v89
	v_mul_f16_e32 v81, 0xbb29, v60
	v_add_f16_e32 v82, v96, v113
	v_add_f16_e32 v67, v84, v67
	v_or_b32_e32 v25, v25, v28
	v_pk_fma_f16 v28, 0x35c83b76, v88, v83 neg_lo:[0,1,0] neg_hi:[0,1,0]
	v_pk_fma_f16 v84, 0x35c83b76, v88, v83
	v_pk_fma_f16 v83, 0x35c83b76, v88, v83 neg_lo:[0,0,1] neg_hi:[0,0,1]
	v_fma_f16 v88, v59, 0x3722, -v87
	v_mul_f16_e32 v89, 0xba62, v71
	v_fmamk_f16 v96, v74, 0x3722, v81
	v_fma_f16 v81, v74, 0x3722, -v81
	v_fmac_f16_e32 v87, 0x3722, v59
	v_add_f16_e32 v70, v88, v70
	v_fma_f16 v88, v59, 0xb8d2, -v89
	v_add_f16_e32 v85, v96, v85
	v_mul_f16_e32 v96, 0xba62, v60
	v_add_f16_e32 v81, v81, v86
	v_mul_f16_e32 v86, 0x31e1, v71
	v_add_f16_e32 v76, v76, v97
	v_add_f16_e32 v75, v87, v75
	;; [unrolled: 1-line block ×3, first 2 shown]
	v_fmamk_f16 v87, v74, 0xb8d2, v96
	v_fma_f16 v88, v74, 0xb8d2, -v96
	v_mul_f16_e32 v96, 0x31e1, v60
	v_fma_f16 v98, v59, 0xbbdd, -v86
	v_add_f16_e32 v97, v102, v109
	v_fmac_f16_e32 v89, 0xb8d2, v59
	v_add_f16_e32 v87, v87, v90
	v_add_f16_e32 v88, v88, v91
	v_fmamk_f16 v90, v74, 0xbbdd, v96
	v_add_f16_e32 v76, v98, v76
	v_mul_f16_e32 v91, 0x3bb2, v71
	v_fmac_f16_e32 v86, 0xbbdd, v59
	v_fma_f16 v96, v74, 0xbbdd, -v96
	v_mul_f16_e32 v98, 0x3bb2, v60
	v_add_f16_e32 v65, v79, v65
	v_add_f16_e32 v89, v89, v99
	v_fma_f16 v99, v59, 0xb461, -v91
	v_add_f16_e32 v86, v86, v97
	v_add_f16_e32 v95, v96, v95
	v_mul_f16_e32 v96, 0x3964, v71
	v_fmamk_f16 v97, v74, 0xb461, v98
	v_add_f16_e32 v68, v104, v111
	v_add_f16_e32 v65, v99, v65
	v_fma_f16 v98, v74, 0xb461, -v98
	v_fma_f16 v99, v59, 0x39e9, -v96
	v_add_f16_e32 v92, v97, v92
	v_mul_f16_e32 v97, 0x3964, v60
	v_add_f16_e32 v93, v93, v108
	v_add_f16_e32 v69, v98, v69
	;; [unrolled: 1-line block ×3, first 2 shown]
	v_mul_f16_e32 v99, 0xb5c8, v60
	v_fmamk_f16 v98, v74, 0x39e9, v97
	v_add_f16_e32 v79, v103, v110
	v_fmac_f16_e32 v91, 0xb461, v59
	v_add_f16_e32 v101, v101, v117
	v_add_f16_e32 v77, v77, v112
	;; [unrolled: 1-line block ×3, first 2 shown]
	v_fmamk_f16 v98, v74, 0x3b76, v99
	v_add_f16_e32 v79, v91, v79
	v_mul_f16_e32 v91, 0xb5c8, v71
	v_fmac_f16_e32 v96, 0x39e9, v59
	v_fma_f16 v97, v74, 0x39e9, -v97
	v_add_f16_e32 v94, v98, v94
	v_fma_f16 v98, v74, 0x3b76, -v99
	v_mul_f16_e32 v99, 0xbbf7, v60
	v_pack_b32_f16 v60, v60, v59
	v_add_f16_e32 v90, v90, v100
	v_fma_f16 v100, v59, 0x3b76, -v91
	v_add_f16_e32 v77, v96, v77
	v_add_f16_e32 v96, v97, v101
	v_fmac_f16_e32 v91, 0x3b76, v59
	v_mul_f16_e32 v97, 0xbbf7, v71
	v_add_f16_e32 v66, v98, v66
	v_fmamk_f16 v98, v74, 0x2de8, v99
	v_pack_b32_f16 v71, v74, v71
	v_pk_mul_f16 v60, 0xbacdb836, v60
	v_add_f16_e32 v29, v29, v115
	v_pk_add_f16 v28, v28, v116
	v_add_f16_e32 v82, v91, v82
	v_fma_f16 v91, v59, 0x2de8, -v97
	v_fmac_f16_e32 v97, 0x2de8, v59
	v_add_f16_e32 v59, v98, v67
	v_fma_f16 v67, v74, 0x2de8, -v99
	v_pk_fma_f16 v74, 0xb836bacd, v71, v60 neg_lo:[0,1,0] neg_hi:[0,1,0]
	v_pk_add_f16 v84, v84, v118
	v_pk_add_f16 v83, v83, v119
	v_add_f16_e32 v29, v91, v29
	v_pk_fma_f16 v91, 0xb836bacd, v71, v60
	v_pk_fma_f16 v60, 0xb836bacd, v71, v60 neg_lo:[0,0,1] neg_hi:[0,0,1]
	v_mul_f16_e32 v71, 0xbbf7, v72
	v_pk_add_f16 v28, v74, v28
	v_mul_f16_e32 v74, 0xbbf7, v58
	v_add_f16_e32 v67, v67, v78
	v_pk_add_f16 v84, v91, v84
	v_fma_f16 v78, v57, 0x2de8, -v71
	v_pk_add_f16 v60, v60, v83
	v_mul_f16_e32 v83, 0xb1e1, v72
	v_fmamk_f16 v91, v73, 0x2de8, v74
	v_fma_f16 v74, v73, 0x2de8, -v74
	v_add_f16_e32 v70, v78, v70
	v_fmac_f16_e32 v71, 0x2de8, v57
	v_fma_f16 v78, v57, 0xbbdd, -v83
	v_add_f16_e32 v85, v91, v85
	v_mul_f16_e32 v91, 0xb1e1, v58
	v_add_f16_e32 v74, v74, v81
	v_add_f16_e32 v71, v71, v75
	;; [unrolled: 1-line block ×3, first 2 shown]
	v_mul_f16_e32 v75, 0x3bb2, v72
	v_fmamk_f16 v78, v73, 0xbbdd, v91
	v_fma_f16 v81, v73, 0xbbdd, -v91
	v_mul_f16_e32 v91, 0x3bb2, v58
	v_fmac_f16_e32 v83, 0xbbdd, v57
	v_add_f16_e32 v63, v97, v63
	v_add_f16_e32 v78, v78, v87
	v_fma_f16 v97, v57, 0xb461, -v75
	v_fmamk_f16 v87, v73, 0xb461, v91
	v_add_f16_e32 v83, v83, v89
	v_add_f16_e32 v81, v81, v88
	v_mul_f16_e32 v88, 0x35c8, v72
	v_fmac_f16_e32 v75, 0xb461, v57
	v_fma_f16 v89, v73, 0xb461, -v91
	v_add_f16_e32 v87, v87, v90
	v_mul_f16_e32 v90, 0x35c8, v58
	v_fma_f16 v91, v57, 0x3b76, -v88
	v_add_f16_e32 v75, v75, v86
	v_add_f16_e32 v86, v89, v95
	v_mul_f16_e32 v89, 0xbb29, v72
	v_fmamk_f16 v95, v73, 0x3b76, v90
	v_add_f16_e32 v65, v91, v65
	v_fma_f16 v90, v73, 0x3b76, -v90
	v_fmac_f16_e32 v88, 0x3b76, v57
	v_fma_f16 v91, v57, 0x3722, -v89
	v_add_f16_e32 v92, v95, v92
	v_mul_f16_e32 v95, 0xbb29, v58
	v_add_f16_e32 v69, v90, v69
	v_fmac_f16_e32 v89, 0x3722, v57
	v_add_f16_e32 v68, v91, v68
	v_mul_f16_e32 v91, 0xb836, v58
	v_fmamk_f16 v90, v73, 0x3722, v95
	v_fma_f16 v95, v73, 0x3722, -v95
	v_add_f16_e32 v79, v88, v79
	v_mul_f16_e32 v88, 0xb836, v72
	v_add_f16_e32 v77, v89, v77
	v_add_f16_e32 v90, v90, v93
	v_fmamk_f16 v93, v73, 0xbacd, v91
	v_add_f16_e32 v89, v95, v96
	v_fma_f16 v91, v73, 0xbacd, -v91
	v_mul_f16_e32 v95, 0x3a62, v58
	v_add_f16_e32 v76, v97, v76
	v_fma_f16 v97, v57, 0xbacd, -v88
	v_fmac_f16_e32 v88, 0xbacd, v57
	v_add_f16_e32 v93, v93, v94
	v_mul_f16_e32 v94, 0x3a62, v72
	v_pack_b32_f16 v58, v58, v57
	v_add_f16_e32 v66, v91, v66
	v_fmamk_f16 v91, v73, 0xb8d2, v95
	v_add_f16_e32 v82, v88, v82
	v_fma_f16 v88, v57, 0xb8d2, -v94
	v_pack_b32_f16 v72, v73, v72
	v_pk_mul_f16 v58, 0x39e93964, v58
	v_fmac_f16_e32 v94, 0xb8d2, v57
	v_add_f16_e32 v57, v91, v59
	v_fma_f16 v59, v73, 0xb8d2, -v95
	v_add_f16_e32 v29, v88, v29
	v_pk_fma_f16 v73, 0x396439e9, v72, v58 neg_lo:[0,1,0] neg_hi:[0,1,0]
	v_pk_fma_f16 v88, 0x396439e9, v72, v58
	v_pk_fma_f16 v58, 0x396439e9, v72, v58 neg_lo:[0,0,1] neg_hi:[0,0,1]
	v_mul_f16_e32 v72, 0xbbb2, v62
	v_add_f16_e32 v59, v59, v67
	v_mul_f16_e32 v67, 0xbbb2, v54
	v_pk_add_f16 v28, v73, v28
	v_pk_add_f16 v84, v88, v84
	v_fma_f16 v73, v53, 0xb461, -v72
	v_pk_add_f16 v58, v58, v60
	v_mul_f16_e32 v60, 0x3836, v62
	v_fmamk_f16 v88, v61, 0xb461, v67
	v_fmac_f16_e32 v72, 0xb461, v53
	v_add_f16_e32 v70, v73, v70
	v_fma_f16 v67, v61, 0xb461, -v67
	v_fma_f16 v73, v53, 0xbacd, -v60
	v_add_f16_e32 v85, v88, v85
	v_mul_f16_e32 v88, 0x3836, v54
	v_add_f16_e32 v71, v72, v71
	v_add_f16_e32 v67, v67, v74
	;; [unrolled: 1-line block ×3, first 2 shown]
	v_mul_f16_e32 v72, 0x3964, v62
	v_fmamk_f16 v73, v61, 0xbacd, v88
	v_fmac_f16_e32 v60, 0xbacd, v53
	v_fma_f16 v74, v61, 0xbacd, -v88
	v_mul_f16_e32 v88, 0x3964, v54
	v_fma_f16 v91, v53, 0x39e9, -v72
	v_add_f16_e32 v73, v73, v78
	v_add_f16_e32 v60, v60, v83
	v_add_f16_e32 v74, v74, v81
	v_fmamk_f16 v78, v61, 0x39e9, v88
	v_mul_f16_e32 v81, 0xbb29, v62
	v_fmac_f16_e32 v72, 0x39e9, v53
	v_fma_f16 v83, v61, 0x39e9, -v88
	v_add_f16_e32 v76, v91, v76
	v_add_f16_e32 v78, v78, v87
	v_mul_f16_e32 v87, 0xbb29, v54
	v_fma_f16 v88, v53, 0x3722, -v81
	v_add_f16_e32 v72, v72, v75
	v_add_f16_e32 v75, v83, v86
	v_mul_f16_e32 v83, 0xb1e1, v62
	v_fmamk_f16 v86, v61, 0x3722, v87
	v_add_f16_e32 v65, v88, v65
	v_fma_f16 v87, v61, 0x3722, -v87
	v_mul_f16_e32 v91, 0xb1e1, v54
	v_fma_f16 v88, v53, 0xbbdd, -v83
	v_fmac_f16_e32 v81, 0x3722, v53
	v_fmac_f16_e32 v83, 0xbbdd, v53
	v_add_f16_e32 v69, v87, v69
	v_fmamk_f16 v87, v61, 0xbbdd, v91
	v_add_f16_e32 v68, v88, v68
	v_mul_f16_e32 v88, 0x3bf7, v54
	v_add_f16_e32 v79, v81, v79
	v_mul_f16_e32 v81, 0x3bf7, v62
	v_fma_f16 v91, v61, 0xbbdd, -v91
	v_add_f16_e32 v87, v87, v90
	v_fmamk_f16 v90, v61, 0x2de8, v88
	v_add_f16_e32 v86, v86, v92
	v_fma_f16 v92, v53, 0x2de8, -v81
	v_add_f16_e32 v77, v83, v77
	v_add_f16_e32 v83, v91, v89
	v_fmac_f16_e32 v81, 0x2de8, v53
	v_add_f16_e32 v89, v90, v93
	v_mul_f16_e32 v90, 0xb5c8, v62
	v_mul_f16_e32 v91, 0xb5c8, v54
	v_pack_b32_f16 v54, v54, v53
	v_fma_f16 v88, v61, 0x2de8, -v88
	v_add_f16_e32 v81, v81, v82
	v_fma_f16 v82, v53, 0x3b76, -v90
	v_pack_b32_f16 v62, v61, v62
	v_pk_mul_f16 v54, 0xb8d2ba62, v54
	v_fmac_f16_e32 v90, 0x3b76, v53
	v_fma_f16 v53, v61, 0x3b76, -v91
	v_add_f16_e32 v66, v88, v66
	v_fmamk_f16 v88, v61, 0x3b76, v91
	v_add_f16_e32 v29, v82, v29
	v_pk_fma_f16 v61, 0xba62b8d2, v62, v54 neg_lo:[0,1,0] neg_hi:[0,1,0]
	v_pk_fma_f16 v82, 0xba62b8d2, v62, v54
	v_pk_fma_f16 v54, 0xba62b8d2, v62, v54 neg_lo:[0,0,1] neg_hi:[0,0,1]
	v_mul_f16_e32 v62, 0xba62, v56
	v_add_f16_e32 v53, v53, v59
	v_mul_f16_e32 v59, 0xba62, v52
	v_pk_add_f16 v28, v61, v28
	v_pk_add_f16 v82, v82, v84
	v_fma_f16 v61, v51, 0xb8d2, -v62
	v_pk_add_f16 v54, v54, v58
	v_mul_f16_e32 v58, 0x3bb2, v56
	v_fmamk_f16 v84, v55, 0xb8d2, v59
	v_fmac_f16_e32 v62, 0xb8d2, v51
	v_add_f16_e32 v61, v61, v70
	v_fma_f16 v59, v55, 0xb8d2, -v59
	v_fma_f16 v70, v51, 0xb461, -v58
	v_add_f16_e32 v84, v84, v85
	v_mul_f16_e32 v85, 0x3bb2, v52
	v_add_f16_e32 v62, v62, v71
	v_add_f16_e32 v59, v59, v67
	;; [unrolled: 1-line block ×3, first 2 shown]
	v_mul_f16_e32 v67, 0xb5c8, v56
	v_fmamk_f16 v70, v55, 0xb461, v85
	v_fmac_f16_e32 v58, 0xb461, v51
	v_fma_f16 v71, v55, 0xb461, -v85
	v_mul_f16_e32 v85, 0xb5c8, v52
	v_add_f16_e32 v57, v88, v57
	v_fma_f16 v88, v51, 0x3b76, -v67
	v_add_f16_e32 v58, v58, v60
	v_add_f16_e32 v60, v71, v74
	v_fmamk_f16 v71, v55, 0x3b76, v85
	v_add_f16_e32 v70, v70, v73
	v_add_f16_e32 v73, v88, v76
	v_mul_f16_e32 v74, 0xb836, v56
	v_fmac_f16_e32 v67, 0x3b76, v51
	v_fma_f16 v76, v55, 0x3b76, -v85
	v_add_f16_e32 v71, v71, v78
	v_mul_f16_e32 v78, 0xb836, v52
	v_fma_f16 v85, v51, 0xbacd, -v74
	v_add_f16_e32 v67, v67, v72
	v_add_f16_e32 v72, v76, v75
	v_mul_f16_e32 v75, 0x3bf7, v56
	v_fmamk_f16 v76, v55, 0xbacd, v78
	v_add_f16_e32 v65, v85, v65
	v_fmac_f16_e32 v74, 0xbacd, v51
	v_fma_f16 v78, v55, 0xbacd, -v78
	v_fma_f16 v85, v51, 0x2de8, -v75
	v_add_f16_e32 v76, v76, v86
	v_mul_f16_e32 v86, 0x3bf7, v52
	v_add_f16_e32 v74, v74, v79
	v_add_f16_e32 v69, v78, v69
	;; [unrolled: 1-line block ×3, first 2 shown]
	v_mul_f16_e32 v78, 0xb964, v56
	v_fmamk_f16 v79, v55, 0x2de8, v86
	v_mul_f16_e32 v85, 0xb964, v52
	v_fmac_f16_e32 v75, 0x2de8, v51
	v_fma_f16 v86, v55, 0x2de8, -v86
	v_fma_f16 v88, v51, 0x39e9, -v78
	v_add_f16_e32 v79, v79, v87
	v_fmamk_f16 v87, v55, 0x39e9, v85
	v_add_f16_e32 v75, v75, v77
	v_add_f16_e32 v77, v86, v83
	v_fmac_f16_e32 v78, 0x39e9, v51
	v_mul_f16_e32 v86, 0xb1e1, v56
	v_add_f16_e32 v83, v87, v89
	v_fma_f16 v85, v55, 0x39e9, -v85
	v_mul_f16_e32 v87, 0xb1e1, v52
	v_add_f16_e32 v78, v78, v81
	v_pack_b32_f16 v52, v52, v51
	v_fma_f16 v81, v51, 0xbbdd, -v86
	v_add_f16_e32 v66, v85, v66
	v_fmamk_f16 v85, v55, 0xbbdd, v87
	v_pack_b32_f16 v56, v55, v56
	v_pk_mul_f16 v52, 0x37223b29, v52
	v_fmac_f16_e32 v86, 0xbbdd, v51
	v_fma_f16 v51, v55, 0xbbdd, -v87
	v_add_f16_e32 v29, v81, v29
	v_mul_f16_e32 v81, 0xb836, v27
	v_add_f16_e32 v55, v85, v57
	v_pk_fma_f16 v57, 0x3b293722, v56, v52 neg_lo:[0,1,0] neg_hi:[0,1,0]
	v_add_f16_e32 v51, v51, v53
	v_pk_fma_f16 v53, 0x3b293722, v56, v52
	v_mul_f16_e32 v85, 0xb836, v50
	v_pk_fma_f16 v52, 0x3b293722, v56, v52 neg_lo:[0,0,1] neg_hi:[0,0,1]
	v_fma_f16 v56, v49, 0xbacd, -v81
	v_pk_add_f16 v28, v57, v28
	v_pk_add_f16 v53, v53, v82
	v_fmamk_f16 v57, v23, 0xbacd, v85
	v_fmac_f16_e32 v81, 0xbacd, v49
	v_pk_add_f16 v52, v52, v54
	v_mul_f16_e32 v54, 0x3b29, v27
	v_add_f16_e32 v56, v56, v61
	v_mul_f16_e32 v61, 0x3b29, v50
	v_fma_f16 v82, v23, 0xbacd, -v85
	v_add_f16_e32 v57, v57, v84
	v_fma_f16 v84, v49, 0x3722, -v54
	v_add_f16_e32 v62, v81, v62
	v_fmamk_f16 v81, v23, 0x3722, v61
	v_add_f16_e32 v59, v82, v59
	v_mul_f16_e32 v82, 0xbbf7, v27
	v_fmac_f16_e32 v54, 0x3722, v49
	v_add_f16_e32 v64, v84, v64
	v_mul_f16_e32 v84, 0xbbf7, v50
	v_fma_f16 v61, v23, 0x3722, -v61
	v_add_f16_e32 v70, v81, v70
	v_fma_f16 v81, v49, 0x2de8, -v82
	v_add_f16_e32 v80, v80, v114
	v_add_f16_e32 v54, v54, v58
	v_fmamk_f16 v58, v23, 0x2de8, v84
	v_fmac_f16_e32 v82, 0x2de8, v49
	v_add_f16_e32 v60, v61, v60
	v_mul_f16_e32 v61, 0x3a62, v27
	v_add_f16_e32 v73, v81, v73
	v_mul_f16_e32 v81, 0x3a62, v50
	v_fma_f16 v84, v23, 0x2de8, -v84
	v_add_f16_e32 v80, v100, v80
	v_add_f16_e32 v58, v58, v71
	v_fma_f16 v71, v49, 0xb8d2, -v61
	v_add_f16_e32 v67, v82, v67
	v_fmamk_f16 v82, v23, 0xb8d2, v81
	v_add_f16_e32 v72, v84, v72
	v_mul_f16_e32 v84, 0xb5c8, v27
	v_add_f16_e32 v80, v97, v80
	v_fmac_f16_e32 v61, 0xb8d2, v49
	v_add_f16_e32 v65, v71, v65
	v_mul_f16_e32 v71, 0xb5c8, v50
	v_fma_f16 v81, v23, 0xb8d2, -v81
	v_add_f16_e32 v76, v82, v76
	v_fma_f16 v82, v49, 0x3b76, -v84
	v_add_f16_e32 v80, v92, v80
	v_add_f16_e32 v61, v61, v74
	v_fmamk_f16 v74, v23, 0x3b76, v71
	v_fmac_f16_e32 v84, 0x3b76, v49
	v_add_f16_e32 v69, v81, v69
	v_mul_f16_e32 v81, 0xb1e1, v27
	v_add_f16_e32 v68, v82, v68
	v_mul_f16_e32 v82, 0xb1e1, v50
	v_fma_f16 v71, v23, 0x3b76, -v71
	v_add_f16_e32 v63, v94, v63
	v_add_f16_e32 v80, v88, v80
	;; [unrolled: 1-line block ×3, first 2 shown]
	v_fma_f16 v79, v49, 0xbbdd, -v81
	v_add_f16_e32 v75, v84, v75
	v_fmamk_f16 v84, v23, 0xbbdd, v82
	v_add_f16_e32 v71, v71, v77
	v_mul_f16_e32 v77, 0x3964, v27
	v_add_f16_e32 v63, v90, v63
	v_fmac_f16_e32 v81, 0xbbdd, v49
	v_add_f16_e32 v79, v79, v80
	v_mul_f16_e32 v80, 0x3964, v50
	v_add_f16_e32 v83, v84, v83
	v_fma_f16 v84, v49, 0x39e9, -v77
	v_fmac_f16_e32 v77, 0x39e9, v49
	v_pack_b32_f16 v49, v50, v49
	v_add_f16_e32 v63, v86, v63
	v_fma_f16 v82, v23, 0xbbdd, -v82
	v_add_f16_e32 v78, v81, v78
	v_fmamk_f16 v81, v23, 0x39e9, v80
	v_fma_f16 v80, v23, 0x39e9, -v80
	v_pack_b32_f16 v23, v23, v27
	v_pk_mul_f16 v27, 0xb461bbb2, v49
	v_mul_f16_e32 v50, 0xb1e1, v22
	v_add_f16_e32 v66, v82, v66
	v_mul_f16_e32 v82, 0xb1e1, v30
	v_add_f16_e32 v55, v81, v55
	v_pk_fma_f16 v81, 0xbbb2b461, v23, v27 neg_lo:[0,1,0] neg_hi:[0,1,0]
	v_add_f16_e32 v63, v77, v63
	v_mul_f16_e32 v77, 0x35c8, v22
	v_add_f16_e32 v51, v80, v51
	v_pk_fma_f16 v80, 0xbbb2b461, v23, v27
	v_pk_fma_f16 v23, 0xbbb2b461, v23, v27 neg_lo:[0,0,1] neg_hi:[0,0,1]
	v_fma_f16 v49, v26, 0xbbdd, -v50
	v_add_f16_e32 v29, v84, v29
	v_fmamk_f16 v84, v24, 0xbbdd, v82
	v_pk_add_f16 v28, v81, v28
	v_mul_f16_e32 v81, 0x35c8, v30
	v_fma_f16 v27, v26, 0x3b76, -v77
	v_pk_add_f16 v23, v23, v52
	v_mul_f16_e32 v52, 0xb836, v22
	v_fmac_f16_e32 v50, 0xbbdd, v26
	v_fma_f16 v82, v24, 0xbbdd, -v82
	v_pk_add_f16 v53, v80, v53
	v_fmamk_f16 v80, v24, 0x3b76, v81
	v_fmac_f16_e32 v77, 0x3b76, v26
	v_add_f16_e32 v49, v49, v56
	v_mul_f16_e32 v56, 0xb836, v30
	v_fma_f16 v81, v24, 0x3b76, -v81
	v_add_f16_e32 v57, v84, v57
	v_fma_f16 v84, v26, 0xbacd, -v52
	v_add_f16_e32 v27, v27, v64
	v_mul_f16_e32 v64, 0x3964, v30
	v_add_f16_e32 v50, v50, v62
	v_fmamk_f16 v62, v24, 0xbacd, v56
	v_fmac_f16_e32 v52, 0xbacd, v26
	v_add_f16_e32 v59, v82, v59
	v_mul_f16_e32 v82, 0x3964, v22
	v_fma_f16 v56, v24, 0xbacd, -v56
	v_add_f16_e32 v54, v77, v54
	v_fmamk_f16 v77, v24, 0x39e9, v64
	v_add_f16_e32 v60, v81, v60
	v_mul_f16_e32 v81, 0xba62, v22
	v_add_f16_e32 v73, v84, v73
	v_mul_f16_e32 v84, 0xba62, v30
	v_fma_f16 v64, v24, 0x39e9, -v64
	v_add_f16_e32 v70, v80, v70
	v_fma_f16 v80, v26, 0x39e9, -v82
	v_add_f16_e32 v58, v62, v58
	;; [unrolled: 2-line block ×3, first 2 shown]
	v_fmamk_f16 v67, v24, 0xb8d2, v84
	v_add_f16_e32 v56, v56, v72
	v_mul_f16_e32 v72, 0x3b29, v22
	v_add_f16_e32 v64, v64, v69
	v_mul_f16_e32 v69, 0xbbb2, v22
	v_fmac_f16_e32 v82, 0x39e9, v26
	v_fmac_f16_e32 v81, 0xb8d2, v26
	v_add_f16_e32 v65, v80, v65
	v_mul_f16_e32 v80, 0x3b29, v30
	v_add_f16_e32 v76, v77, v76
	v_fma_f16 v77, v26, 0x3722, -v72
	v_fmac_f16_e32 v72, 0x3722, v26
	v_add_f16_e32 v62, v62, v68
	v_mul_f16_e32 v68, 0xbbb2, v30
	v_add_f16_e32 v67, v67, v74
	v_fma_f16 v74, v26, 0xb461, -v69
	v_fmac_f16_e32 v69, 0xb461, v26
	v_pack_b32_f16 v26, v30, v26
	v_fma_f16 v84, v24, 0xb8d2, -v84
	v_add_f16_e32 v61, v82, v61
	v_fmamk_f16 v82, v24, 0x3722, v80
	v_fma_f16 v80, v24, 0x3722, -v80
	v_add_f16_e32 v75, v81, v75
	v_fmamk_f16 v81, v24, 0xb461, v68
	v_fma_f16 v68, v24, 0xb461, -v68
	v_pack_b32_f16 v22, v24, v22
	v_pk_mul_f16 v24, 0x2de83bf7, v26
	v_add_f16_e32 v26, v72, v78
	v_add_f16_e32 v29, v74, v29
	v_add_f16_e32 v55, v81, v55
	v_add_f16_e32 v30, v84, v71
	v_pk_fma_f16 v72, 0x3bf72de8, v22, v24 neg_lo:[0,1,0] neg_hi:[0,1,0]
	v_pk_fma_f16 v74, 0x3bf72de8, v22, v24
	v_pk_fma_f16 v22, 0x3bf72de8, v22, v24 neg_lo:[0,0,1] neg_hi:[0,0,1]
	v_add_f16_e32 v71, v77, v79
	v_add_f16_e32 v77, v82, v83
	v_pk_add_f16 v28, v72, v28
	v_pk_add_f16 v53, v74, v53
	;; [unrolled: 1-line block ×3, first 2 shown]
	v_pack_b32_f16 v29, v29, v55
	v_add_f16_e32 v66, v80, v66
	v_add_f16_e32 v24, v69, v63
	;; [unrolled: 1-line block ×3, first 2 shown]
	v_pack_b32_f16 v23, v27, v70
	v_pack_b32_f16 v27, v49, v57
	;; [unrolled: 1-line block ×6, first 2 shown]
	ds_store_2addr_b32 v32, v25, v29 offset1:7
	v_alignbit_b32 v22, v22, v53, 16
	v_alignbit_b32 v25, v53, v28, 16
	v_pack_b32_f16 v26, v26, v66
	v_pack_b32_f16 v24, v24, v51
	v_pack_b32_f16 v28, v61, v64
	v_pack_b32_f16 v29, v75, v30
	v_pack_b32_f16 v51, v52, v56
	v_pack_b32_f16 v50, v50, v59
	v_pack_b32_f16 v30, v54, v60
	ds_store_2addr_b32 v32, v27, v23 offset0:1 offset1:2
	ds_store_2addr_b32 v32, v55, v49 offset0:3 offset1:4
	;; [unrolled: 1-line block ×7, first 2 shown]
	ds_store_b32 v32, v50 offset:64
	global_wb scope:SCOPE_SE
	s_wait_dscnt 0x0
	s_barrier_signal -1
	s_barrier_wait -1
	global_inv scope:SCOPE_SE
	s_clause 0x3
	global_load_b128 v[22:25], v21, s[2:3] offset:80
	global_load_b128 v[26:29], v21, s[2:3] offset:96
	;; [unrolled: 1-line block ×3, first 2 shown]
	global_load_b64 v[53:54], v21, s[2:3] offset:128
	ds_load_2addr_b32 v[55:56], v32 offset1:1
	ds_load_2addr_b32 v[57:58], v32 offset0:2 offset1:3
	v_lshrrev_b32_e32 v21, 16, v1
	v_lshrrev_b32_e32 v63, 16, v2
	ds_load_2addr_b32 v[59:60], v32 offset0:4 offset1:5
	ds_load_2addr_b32 v[61:62], v32 offset0:6 offset1:7
	v_lshrrev_b32_e32 v66, 16, v3
	s_wait_dscnt 0x3
	v_lshrrev_b32_e32 v30, 16, v55
	v_lshrrev_b32_e32 v64, 16, v56
	s_delay_alu instid0(VALU_DEP_2) | instskip(NEXT) | instid1(VALU_DEP_2)
	v_mul_f16_e32 v65, v30, v21
	v_mul_f16_e32 v67, v64, v63
	;; [unrolled: 1-line block ×4, first 2 shown]
	s_delay_alu instid0(VALU_DEP_4)
	v_fma_f16 v55, v55, v1, -v65
	s_wait_dscnt 0x2
	v_lshrrev_b32_e32 v65, 16, v57
	v_fma_f16 v56, v56, v2, -v67
	v_fmac_f16_e32 v63, v64, v2
	v_fmac_f16_e32 v21, v30, v1
	v_lshrrev_b32_e32 v1, 16, v58
	v_mul_f16_e32 v2, v65, v66
	s_wait_dscnt 0x1
	v_lshrrev_b32_e32 v64, 16, v60
	v_pack_b32_f16 v56, v56, v63
	v_mul_f16_e32 v63, v57, v66
	v_pack_b32_f16 v55, v55, v21
	v_fma_f16 v2, v57, v3, -v2
	v_lshrrev_b32_e32 v57, 16, v59
	s_delay_alu instid0(VALU_DEP_4) | instskip(NEXT) | instid1(VALU_DEP_1)
	v_fmac_f16_e32 v63, v65, v3
	v_pack_b32_f16 v63, v2, v63
	s_wait_loadcnt 0x3
	v_lshrrev_b32_e32 v30, 16, v22
	v_lshrrev_b32_e32 v3, 16, v23
	s_wait_loadcnt 0x2
	v_lshrrev_b32_e32 v67, 16, v29
	s_delay_alu instid0(VALU_DEP_3) | instskip(SKIP_1) | instid1(VALU_DEP_2)
	v_mul_f16_e32 v21, v1, v30
	v_mul_f16_e32 v30, v58, v30
	v_fma_f16 v21, v58, v22, -v21
	s_delay_alu instid0(VALU_DEP_2)
	v_fmac_f16_e32 v30, v1, v22
	v_lshrrev_b32_e32 v1, 16, v24
	v_mul_f16_e32 v58, v57, v3
	v_mul_f16_e32 v3, v59, v3
	v_lshrrev_b32_e32 v22, 16, v25
	v_pack_b32_f16 v30, v21, v30
	s_delay_alu instid0(VALU_DEP_4)
	v_fma_f16 v21, v59, v23, -v58
	v_mul_f16_e32 v58, v64, v1
	v_mul_f16_e32 v59, v60, v1
	v_fmac_f16_e32 v3, v57, v23
	ds_load_2addr_b32 v[1:2], v32 offset0:8 offset1:9
	s_wait_dscnt 0x1
	v_lshrrev_b32_e32 v23, 16, v61
	v_fma_f16 v57, v60, v24, -v58
	v_fmac_f16_e32 v59, v64, v24
	v_lshrrev_b32_e32 v24, 16, v62
	v_lshrrev_b32_e32 v60, 16, v26
	v_pack_b32_f16 v3, v21, v3
	v_mul_f16_e32 v58, v23, v22
	v_mul_f16_e32 v64, v61, v22
	v_pack_b32_f16 v57, v57, v59
	v_mul_f16_e32 v21, v24, v60
	v_mul_f16_e32 v59, v62, v60
	v_fma_f16 v58, v61, v25, -v58
	v_fmac_f16_e32 v64, v23, v25
	v_lshrrev_b32_e32 v60, 16, v27
	v_fma_f16 v62, v62, v26, -v21
	ds_load_2addr_b32 v[21:22], v32 offset0:10 offset1:11
	v_fmac_f16_e32 v59, v24, v26
	v_pack_b32_f16 v58, v58, v64
	ds_load_2addr_b32 v[23:24], v32 offset0:12 offset1:13
	ds_load_2addr_b32 v[25:26], v32 offset0:14 offset1:15
	s_wait_dscnt 0x3
	v_lshrrev_b32_e32 v65, 16, v1
	v_lshrrev_b32_e32 v61, 16, v28
	v_pack_b32_f16 v59, v62, v59
	ds_store_2addr_b32 v32, v55, v56 offset1:1
	ds_store_2addr_b32 v32, v63, v30 offset0:2 offset1:3
	ds_store_2addr_b32 v32, v3, v57 offset0:4 offset1:5
	;; [unrolled: 1-line block ×3, first 2 shown]
	v_mul_f16_e32 v62, v65, v60
	v_mul_f16_e32 v3, v1, v60
	v_lshrrev_b32_e32 v66, 16, v2
	s_wait_loadcnt 0x1
	v_lshrrev_b32_e32 v30, 16, v49
	v_fma_f16 v1, v1, v27, -v62
	v_fmac_f16_e32 v3, v65, v27
	v_mul_f16_e32 v64, v66, v61
	v_mul_f16_e32 v61, v2, v61
	s_wait_dscnt 0x6
	v_lshrrev_b32_e32 v27, 16, v22
	v_pack_b32_f16 v1, v1, v3
	v_fma_f16 v2, v2, v28, -v64
	v_fmac_f16_e32 v61, v66, v28
	v_lshrrev_b32_e32 v28, 16, v21
	v_mul_f16_e32 v3, v27, v30
	v_mul_f16_e32 v30, v22, v30
	;; [unrolled: 1-line block ×3, first 2 shown]
	s_wait_dscnt 0x4
	v_lshrrev_b32_e32 v57, 16, v25
	v_mul_f16_e32 v55, v28, v67
	v_fma_f16 v3, v22, v49, -v3
	ds_load_b32 v22, v32 offset:64
	v_fmac_f16_e32 v56, v28, v29
	v_lshrrev_b32_e32 v28, 16, v50
	v_fma_f16 v21, v21, v29, -v55
	v_fmac_f16_e32 v30, v27, v49
	v_lshrrev_b32_e32 v29, 16, v23
	v_lshrrev_b32_e32 v27, 16, v51
	;; [unrolled: 1-line block ×4, first 2 shown]
	v_pack_b32_f16 v3, v3, v30
	v_mul_f16_e32 v30, v29, v28
	v_mul_f16_e32 v28, v23, v28
	v_pack_b32_f16 v21, v21, v56
	v_mul_f16_e32 v56, v55, v27
	v_mul_f16_e32 v27, v24, v27
	v_fma_f16 v23, v23, v50, -v30
	v_fmac_f16_e32 v28, v29, v50
	v_mul_f16_e32 v29, v57, v49
	v_lshrrev_b32_e32 v30, 16, v26
	s_wait_loadcnt 0x0
	v_lshrrev_b32_e32 v50, 16, v53
	v_fma_f16 v24, v24, v51, -v56
	v_fmac_f16_e32 v27, v55, v51
	v_lshrrev_b32_e32 v51, 16, v54
	s_wait_dscnt 0x0
	v_lshrrev_b32_e32 v55, 16, v22
	v_fma_f16 v29, v25, v52, -v29
	v_mul_f16_e32 v25, v25, v49
	v_mul_f16_e32 v49, v30, v50
	;; [unrolled: 1-line block ×5, first 2 shown]
	v_fmac_f16_e32 v25, v57, v52
	v_fma_f16 v26, v26, v53, -v49
	v_fmac_f16_e32 v50, v30, v53
	v_fma_f16 v22, v22, v54, -v56
	v_fmac_f16_e32 v51, v55, v54
	v_pack_b32_f16 v2, v2, v61
	v_pack_b32_f16 v24, v24, v27
	;; [unrolled: 1-line block ×6, first 2 shown]
	ds_store_2addr_b32 v32, v1, v2 offset0:8 offset1:9
	ds_store_2addr_b32 v32, v21, v3 offset0:10 offset1:11
	;; [unrolled: 1-line block ×4, first 2 shown]
	ds_store_b32 v32, v22 offset:64
	global_wb scope:SCOPE_SE
	s_wait_dscnt 0x0
	s_barrier_signal -1
	s_barrier_wait -1
	global_inv scope:SCOPE_SE
	ds_load_2addr_b32 v[21:22], v32 offset1:7
	ds_load_2addr_b32 v[49:50], v32 offset0:1 offset1:2
	ds_load_2addr_b32 v[29:30], v32 offset0:3 offset1:4
	;; [unrolled: 1-line block ×4, first 2 shown]
	s_wait_dscnt 0x4
	v_lshrrev_b32_e32 v53, 16, v21
	s_wait_dscnt 0x3
	v_lshrrev_b32_e32 v3, 16, v49
	v_lshrrev_b32_e32 v23, 16, v50
	v_add_f16_e32 v24, v49, v21
	v_lshrrev_b32_e32 v28, 16, v22
	s_wait_dscnt 0x0
	v_lshrrev_b32_e32 v51, 16, v1
	v_add_f16_e32 v3, v3, v53
	v_lshrrev_b32_e32 v52, 16, v2
	v_add_f16_e32 v24, v24, v50
	v_alignbit_b32 v49, v49, v49, 16
	s_delay_alu instid0(VALU_DEP_4) | instskip(SKIP_1) | instid1(VALU_DEP_4)
	v_add_f16_e32 v3, v3, v23
	v_lshrrev_b32_e32 v23, 16, v29
	v_add_f16_e32 v24, v24, v29
	s_delay_alu instid0(VALU_DEP_2) | instskip(SKIP_1) | instid1(VALU_DEP_3)
	v_add_f16_e32 v3, v3, v23
	v_lshrrev_b32_e32 v23, 16, v30
	v_add_f16_e32 v24, v24, v30
	s_delay_alu instid0(VALU_DEP_2) | instskip(SKIP_1) | instid1(VALU_DEP_3)
	;; [unrolled: 4-line block ×3, first 2 shown]
	v_add_f16_e32 v3, v3, v23
	v_lshrrev_b32_e32 v23, 16, v26
	v_add_f16_e32 v27, v27, v26
	s_delay_alu instid0(VALU_DEP_2)
	v_add_f16_e32 v3, v3, v23
	ds_load_2addr_b32 v[23:24], v32 offset0:10 offset1:11
	v_add_f16_e32 v54, v27, v22
	v_add_f16_e32 v3, v3, v28
	ds_load_2addr_b32 v[27:28], v32 offset0:12 offset1:13
	v_add_f16_e32 v54, v54, v1
	v_add_f16_e32 v3, v3, v51
	s_delay_alu instid0(VALU_DEP_2) | instskip(NEXT) | instid1(VALU_DEP_2)
	v_add_f16_e32 v54, v54, v2
	v_add_f16_e32 v3, v3, v52
	ds_load_2addr_b32 v[51:52], v32 offset0:14 offset1:15
	ds_load_b32 v55, v32 offset:64
	s_wait_dscnt 0x3
	v_lshrrev_b32_e32 v56, 16, v23
	v_add_f16_e32 v54, v54, v23
	s_delay_alu instid0(VALU_DEP_2) | instskip(SKIP_1) | instid1(VALU_DEP_3)
	v_add_f16_e32 v3, v3, v56
	v_lshrrev_b32_e32 v56, 16, v24
	v_add_f16_e32 v54, v54, v24
	s_delay_alu instid0(VALU_DEP_2) | instskip(SKIP_2) | instid1(VALU_DEP_3)
	v_add_f16_e32 v3, v3, v56
	s_wait_dscnt 0x2
	v_lshrrev_b32_e32 v56, 16, v27
	v_add_f16_e32 v54, v54, v27
	s_wait_dscnt 0x1
	v_pk_add_f16 v79, v50, v52 neg_lo:[0,1] neg_hi:[0,1]
	s_wait_dscnt 0x0
	v_pk_add_f16 v57, v55, v49 op_sel:[1,0] op_sel_hi:[0,1]
	v_pk_add_f16 v49, v49, v55 op_sel:[0,1] op_sel_hi:[1,0] neg_lo:[0,1] neg_hi:[0,1]
	v_add_f16_e32 v3, v3, v56
	v_lshrrev_b32_e32 v56, 16, v28
	v_add_f16_e32 v54, v54, v28
	v_mul_f16_e32 v58, 0x3b76, v57
	v_lshrrev_b32_e32 v59, 16, v49
	v_mul_f16_e32 v64, 0x3722, v57
	v_add_f16_e32 v3, v3, v56
	v_lshrrev_b32_e32 v56, 16, v51
	v_add_f16_e32 v54, v54, v51
	v_mul_f16_e32 v68, 0x2de8, v57
	v_mul_f16_e32 v73, 0xb461, v57
	;; [unrolled: 1-line block ×3, first 2 shown]
	v_add_f16_e32 v3, v3, v56
	v_lshrrev_b32_e32 v56, 16, v52
	v_add_f16_e32 v54, v54, v52
	v_mul_f16_e32 v77, 0xbacd, v57
	v_fmamk_f16 v61, v59, 0x35c8, v58
	v_mul_f16_e32 v62, 0xb964, v49
	v_add_f16_e32 v3, v3, v56
	v_lshrrev_b32_e32 v56, 16, v55
	v_add_f16_e32 v54, v54, v55
	v_lshrrev_b32_e32 v55, 16, v57
	v_fmac_f16_e32 v58, 0xb5c8, v59
	v_mul_f16_e32 v66, 0xbb29, v49
	v_add_f16_e32 v3, v3, v56
	v_and_b32_e32 v54, 0xffff, v54
	v_mul_f16_e32 v56, 0xb5c8, v49
	v_fmamk_f16 v67, v59, 0x3b29, v64
	v_mul_f16_e32 v69, 0xbbf7, v49
	v_lshlrev_b32_e32 v3, 16, v3
	v_fmac_f16_e32 v64, 0xbb29, v59
	v_fmamk_f16 v71, v59, 0x3bf7, v68
	v_fmac_f16_e32 v68, 0xbbf7, v59
	v_mul_f16_e32 v74, 0xbbb2, v49
	v_or_b32_e32 v3, v3, v54
	v_mul_f16_e32 v54, 0x39e9, v57
	v_fmamk_f16 v76, v59, 0x3bb2, v73
	v_fmac_f16_e32 v73, 0xbbb2, v59
	v_fmamk_f16 v78, v59, 0x3a62, v75
	v_fmac_f16_e32 v75, 0xba62, v59
	;; [unrolled: 2-line block ×3, first 2 shown]
	v_pk_add_f16 v50, v52, v50
	v_fmamk_f16 v52, v59, 0x3836, v77
	v_mul_f16_e32 v80, 0xba62, v49
	v_fmac_f16_e32 v77, 0xb836, v59
	v_mul_f16_e32 v59, 0xb836, v49
	v_fmamk_f16 v60, v55, 0x3b76, v56
	v_fma_f16 v56, v55, 0x3b76, -v56
	v_fmamk_f16 v65, v55, 0x39e9, v62
	v_fma_f16 v62, v55, 0x39e9, -v62
	;; [unrolled: 2-line block ×7, first 2 shown]
	v_add_f16_e32 v59, v61, v53
	v_add_f16_e32 v61, v63, v53
	;; [unrolled: 1-line block ×4, first 2 shown]
	v_lshrrev_b32_e32 v71, 16, v79
	v_lshrrev_b32_e32 v85, 16, v50
	v_pk_mul_f16 v49, 0xb1e1, v49 op_sel_hi:[0,1]
	v_add_f16_e32 v60, v60, v21
	v_add_f16_e32 v58, v58, v53
	v_mul_f16_e32 v84, 0xb964, v71
	v_add_f16_e32 v54, v54, v53
	v_add_f16_e32 v64, v64, v53
	;; [unrolled: 1-line block ×4, first 2 shown]
	v_fmamk_f16 v86, v50, 0x39e9, v84
	v_add_f16_e32 v73, v73, v53
	v_add_f16_e32 v78, v78, v53
	;; [unrolled: 1-line block ×4, first 2 shown]
	v_mul_f16_e32 v87, 0x39e9, v85
	v_add_f16_e32 v53, v77, v53
	v_pk_fma_f16 v77, 0xbbdd, v57, v49 op_sel:[0,0,1] op_sel_hi:[0,1,0]
	v_pk_fma_f16 v49, 0xbbdd, v57, v49 op_sel:[0,0,1] op_sel_hi:[0,1,0] neg_lo:[0,0,1] neg_hi:[0,0,1]
	v_add_f16_e32 v57, v86, v60
	v_mul_f16_e32 v86, 0xbbf7, v71
	v_add_f16_e32 v56, v56, v21
	v_fma_f16 v84, v50, 0x39e9, -v84
	v_fmamk_f16 v60, v79, 0x3964, v87
	v_fmac_f16_e32 v87, 0xb964, v79
	v_add_f16_e32 v65, v65, v21
	v_fmamk_f16 v88, v50, 0x2de8, v86
	v_mul_f16_e32 v89, 0x2de8, v85
	v_add_f16_e32 v56, v84, v56
	v_mul_f16_e32 v84, 0xba62, v71
	v_add_f16_e32 v62, v62, v21
	v_fma_f16 v86, v50, 0x2de8, -v86
	v_add_f16_e32 v59, v60, v59
	v_add_f16_e32 v58, v87, v58
	v_add_f16_e32 v60, v88, v65
	v_fmamk_f16 v65, v79, 0x3bf7, v89
	v_fmac_f16_e32 v89, 0xbbf7, v79
	v_add_f16_e32 v70, v70, v21
	v_fmamk_f16 v87, v50, 0xb8d2, v84
	v_mul_f16_e32 v88, 0xb8d2, v85
	v_add_f16_e32 v62, v86, v62
	v_mul_f16_e32 v86, 0xb1e1, v71
	v_add_f16_e32 v66, v66, v21
	v_fma_f16 v84, v50, 0xb8d2, -v84
	v_add_f16_e32 v61, v65, v61
	v_add_f16_e32 v54, v89, v54
	v_add_f16_e32 v65, v87, v70
	;; [unrolled: 12-line block ×3, first 2 shown]
	v_fmamk_f16 v72, v79, 0x31e1, v89
	v_fmac_f16_e32 v89, 0xb1e1, v79
	v_add_f16_e32 v81, v81, v21
	v_fmamk_f16 v87, v50, 0xbacd, v84
	v_mul_f16_e32 v88, 0xbacd, v85
	v_add_f16_e32 v69, v86, v69
	v_mul_f16_e32 v86, 0x3bb2, v71
	v_add_f16_e32 v67, v72, v67
	v_add_f16_e32 v68, v89, v68
	;; [unrolled: 1-line block ×3, first 2 shown]
	v_fmamk_f16 v81, v79, 0xb836, v88
	v_add_f16_e32 v74, v74, v21
	v_fma_f16 v84, v50, 0xbacd, -v84
	v_add_f16_e32 v82, v82, v21
	v_fmamk_f16 v87, v50, 0xb461, v86
	v_mul_f16_e32 v89, 0xb461, v85
	v_add_f16_e32 v76, v81, v76
	v_add_f16_e32 v74, v84, v74
	;; [unrolled: 1-line block ×4, first 2 shown]
	v_fmamk_f16 v82, v79, 0xbbb2, v89
	v_mul_f16_e32 v71, 0x3b29, v71
	v_fma_f16 v84, v50, 0xb461, -v86
	v_mul_f16_e32 v85, 0x3722, v85
	v_add_f16_e32 v55, v55, v21
	v_add_f16_e32 v78, v82, v78
	v_fmamk_f16 v86, v50, 0x3722, v71
	v_add_f16_e32 v80, v84, v80
	v_fmamk_f16 v82, v79, 0xbb29, v85
	v_fma_f16 v71, v50, 0x3722, -v71
	v_pk_add_f16 v84, v29, v51 neg_lo:[0,1] neg_hi:[0,1]
	v_pk_add_f16 v29, v51, v29
	v_pk_mul_f16 v50, 0x3b76, v50 op_sel_hi:[0,1]
	v_add_f16_e32 v52, v82, v52
	v_add_f16_e32 v51, v71, v55
	v_lshrrev_b32_e32 v55, 16, v84
	v_lshrrev_b32_e32 v82, 16, v29
	v_fmac_f16_e32 v88, 0x3836, v79
	v_fmac_f16_e32 v89, 0x3bb2, v79
	v_add_f16_e32 v83, v83, v21
	v_fmac_f16_e32 v85, 0x3b29, v79
	v_pk_fma_f16 v71, 0x35c8, v79, v50 op_sel:[0,0,1] op_sel_hi:[0,1,0]
	v_pk_fma_f16 v50, 0x35c8, v79, v50 op_sel:[0,0,1] op_sel_hi:[0,1,0] neg_lo:[0,1,0] neg_hi:[0,1,0]
	v_mul_f16_e32 v79, 0xbb29, v55
	v_pk_add_f16 v77, v77, v21 op_sel:[0,1] op_sel_hi:[1,0]
	v_pk_add_f16 v21, v49, v21 op_sel:[0,1] op_sel_hi:[1,0]
	v_mul_f16_e32 v49, 0x3722, v82
	v_add_f16_e32 v53, v85, v53
	v_fmamk_f16 v85, v29, 0x3722, v79
	v_pk_add_f16 v71, v71, v77
	v_pk_add_f16 v21, v50, v21
	v_fmamk_f16 v50, v84, 0x3b29, v49
	v_mul_f16_e32 v77, 0xba62, v55
	v_fmac_f16_e32 v49, 0xbb29, v84
	v_add_f16_e32 v57, v85, v57
	v_fma_f16 v79, v29, 0x3722, -v79
	v_add_f16_e32 v50, v50, v59
	v_fmamk_f16 v59, v29, 0xb8d2, v77
	v_mul_f16_e32 v85, 0xb8d2, v82
	v_add_f16_e32 v49, v49, v58
	v_mul_f16_e32 v58, 0x31e1, v55
	v_add_f16_e32 v83, v86, v83
	v_add_f16_e32 v56, v79, v56
	;; [unrolled: 1-line block ×3, first 2 shown]
	v_fmamk_f16 v60, v84, 0x3a62, v85
	v_fma_f16 v77, v29, 0xb8d2, -v77
	v_fmamk_f16 v79, v29, 0xbbdd, v58
	v_mul_f16_e32 v86, 0xbbdd, v82
	v_fmac_f16_e32 v85, 0xba62, v84
	v_add_f16_e32 v60, v60, v61
	v_add_f16_e32 v61, v77, v62
	;; [unrolled: 1-line block ×3, first 2 shown]
	v_fmamk_f16 v65, v84, 0xb1e1, v86
	v_mul_f16_e32 v77, 0x3bb2, v55
	v_fma_f16 v58, v29, 0xbbdd, -v58
	v_mul_f16_e32 v79, 0xb461, v82
	v_add_f16_e32 v54, v85, v54
	v_add_f16_e32 v63, v65, v63
	v_fmamk_f16 v65, v29, 0xb461, v77
	v_add_f16_e32 v58, v58, v66
	v_fmamk_f16 v66, v84, 0xbbb2, v79
	v_mul_f16_e32 v85, 0x3964, v55
	v_fmac_f16_e32 v79, 0x3bb2, v84
	v_add_f16_e32 v65, v65, v70
	v_fma_f16 v70, v29, 0xb461, -v77
	v_fmac_f16_e32 v86, 0x31e1, v84
	v_add_f16_e32 v66, v66, v67
	v_fmamk_f16 v67, v29, 0x39e9, v85
	v_mul_f16_e32 v77, 0x39e9, v82
	v_add_f16_e32 v69, v70, v69
	v_add_f16_e32 v68, v79, v68
	v_mul_f16_e32 v70, 0xb5c8, v55
	v_fma_f16 v79, v29, 0x39e9, -v85
	v_add_f16_e32 v73, v88, v73
	v_add_f16_e32 v64, v86, v64
	;; [unrolled: 1-line block ×3, first 2 shown]
	v_fmamk_f16 v72, v84, 0xb964, v77
	v_fmac_f16_e32 v77, 0x3964, v84
	v_fmamk_f16 v85, v29, 0x3b76, v70
	v_mul_f16_e32 v86, 0x3b76, v82
	v_add_f16_e32 v74, v79, v74
	v_fma_f16 v70, v29, 0x3b76, -v70
	v_mul_f16_e32 v79, 0x2de8, v82
	v_add_f16_e32 v72, v72, v76
	v_add_f16_e32 v73, v77, v73
	;; [unrolled: 1-line block ×3, first 2 shown]
	v_fmamk_f16 v77, v84, 0x35c8, v86
	v_mul_f16_e32 v55, 0xbbf7, v55
	v_add_f16_e32 v70, v70, v80
	v_fmamk_f16 v80, v84, 0x3bf7, v79
	v_pk_add_f16 v81, v30, v28 neg_lo:[0,1] neg_hi:[0,1]
	v_add_f16_e32 v77, v77, v78
	v_fmamk_f16 v78, v29, 0x2de8, v55
	v_fma_f16 v55, v29, 0x2de8, -v55
	v_pk_add_f16 v28, v28, v30
	v_add_f16_e32 v30, v80, v52
	v_lshrrev_b32_e32 v52, 16, v81
	v_pk_mul_f16 v29, 0xbacd, v29 op_sel_hi:[0,1]
	v_add_f16_e32 v51, v55, v51
	v_lshrrev_b32_e32 v55, 16, v28
	v_fmac_f16_e32 v79, 0xbbf7, v84
	v_mul_f16_e32 v80, 0xbbf7, v52
	v_add_f16_e32 v78, v78, v83
	v_pk_fma_f16 v82, 0xb836, v84, v29 op_sel:[0,0,1] op_sel_hi:[0,1,0]
	v_pk_fma_f16 v29, 0xb836, v84, v29 op_sel:[0,0,1] op_sel_hi:[0,1,0] neg_lo:[0,1,0] neg_hi:[0,1,0]
	v_mul_f16_e32 v83, 0x2de8, v55
	v_add_f16_e32 v53, v79, v53
	v_fmamk_f16 v79, v28, 0x2de8, v80
	v_pk_add_f16 v71, v82, v71
	v_pk_add_f16 v21, v29, v21
	v_fmamk_f16 v29, v81, 0x3bf7, v83
	v_mul_f16_e32 v82, 0xb1e1, v52
	v_add_f16_e32 v57, v79, v57
	v_fma_f16 v79, v28, 0x2de8, -v80
	v_fmac_f16_e32 v83, 0xbbf7, v81
	v_add_f16_e32 v29, v29, v50
	v_fmamk_f16 v50, v28, 0xbbdd, v82
	v_mul_f16_e32 v80, 0xbbdd, v55
	v_add_f16_e32 v56, v79, v56
	v_mul_f16_e32 v79, 0x3bb2, v52
	v_fmac_f16_e32 v86, 0xb5c8, v84
	v_add_f16_e32 v49, v83, v49
	v_add_f16_e32 v50, v50, v59
	v_fmamk_f16 v59, v81, 0x31e1, v80
	v_fma_f16 v82, v28, 0xbbdd, -v82
	v_fmac_f16_e32 v80, 0xb1e1, v81
	v_fmamk_f16 v83, v28, 0xb461, v79
	v_mul_f16_e32 v84, 0xb461, v55
	v_add_f16_e32 v59, v59, v60
	v_add_f16_e32 v60, v82, v61
	;; [unrolled: 1-line block ×4, first 2 shown]
	v_fmamk_f16 v62, v81, 0xbbb2, v84
	v_mul_f16_e32 v80, 0x35c8, v52
	v_fma_f16 v79, v28, 0xb461, -v79
	v_mul_f16_e32 v82, 0x3b76, v55
	v_mul_f16_e32 v83, 0xbb29, v52
	v_add_f16_e32 v62, v62, v63
	v_fmamk_f16 v63, v28, 0x3b76, v80
	v_add_f16_e32 v58, v79, v58
	v_fmamk_f16 v79, v81, 0xb5c8, v82
	v_fmac_f16_e32 v84, 0x3bb2, v81
	v_add_f16_e32 v75, v89, v75
	v_add_f16_e32 v63, v63, v65
	v_fma_f16 v65, v28, 0x3b76, -v80
	v_add_f16_e32 v66, v79, v66
	v_fmamk_f16 v79, v28, 0x3722, v83
	v_mul_f16_e32 v80, 0x3722, v55
	v_add_f16_e32 v64, v84, v64
	v_fmac_f16_e32 v82, 0x35c8, v81
	v_add_f16_e32 v65, v65, v69
	v_mul_f16_e32 v69, 0xb836, v52
	v_add_f16_e32 v67, v79, v67
	v_fmamk_f16 v79, v81, 0x3b29, v80
	v_mul_f16_e32 v84, 0xbacd, v55
	v_add_f16_e32 v75, v86, v75
	v_add_f16_e32 v68, v82, v68
	v_fma_f16 v82, v28, 0x3722, -v83
	v_fmac_f16_e32 v80, 0xbb29, v81
	v_fmamk_f16 v83, v28, 0xbacd, v69
	v_add_f16_e32 v72, v79, v72
	v_fmamk_f16 v79, v81, 0x3836, v84
	v_fma_f16 v69, v28, 0xbacd, -v69
	v_fmac_f16_e32 v84, 0xb836, v81
	v_mul_f16_e32 v55, 0xb8d2, v55
	v_add_f16_e32 v73, v80, v73
	v_mul_f16_e32 v52, 0x3a62, v52
	v_add_f16_e32 v69, v69, v70
	v_add_f16_e32 v70, v84, v75
	v_fmamk_f16 v75, v81, 0xba62, v55
	v_pk_add_f16 v80, v25, v27 neg_lo:[0,1] neg_hi:[0,1]
	v_add_f16_e32 v77, v79, v77
	v_fmamk_f16 v79, v28, 0xb8d2, v52
	v_fma_f16 v52, v28, 0xb8d2, -v52
	v_pk_add_f16 v25, v27, v25
	v_add_f16_e32 v27, v75, v30
	v_lshrrev_b32_e32 v30, 16, v80
	v_pk_mul_f16 v28, 0x39e9, v28 op_sel_hi:[0,1]
	v_add_f16_e32 v51, v52, v51
	v_lshrrev_b32_e32 v52, 16, v25
	v_fmac_f16_e32 v55, 0x3a62, v81
	v_mul_f16_e32 v75, 0xbbb2, v30
	v_add_f16_e32 v78, v79, v78
	v_pk_fma_f16 v79, 0x3964, v81, v28 op_sel:[0,0,1] op_sel_hi:[0,1,0]
	v_pk_fma_f16 v28, 0x3964, v81, v28 op_sel:[0,0,1] op_sel_hi:[0,1,0] neg_lo:[0,1,0] neg_hi:[0,1,0]
	v_mul_f16_e32 v81, 0xb461, v52
	v_add_f16_e32 v53, v55, v53
	v_fmamk_f16 v55, v25, 0xb461, v75
	v_pk_add_f16 v71, v79, v71
	v_pk_add_f16 v21, v28, v21
	v_fmamk_f16 v28, v80, 0x3bb2, v81
	v_mul_f16_e32 v79, 0x3836, v30
	v_add_f16_e32 v55, v55, v57
	v_fma_f16 v57, v25, 0xb461, -v75
	v_fmac_f16_e32 v81, 0xbbb2, v80
	v_add_f16_e32 v28, v28, v29
	v_fmamk_f16 v29, v25, 0xbacd, v79
	v_mul_f16_e32 v75, 0xbacd, v52
	v_add_f16_e32 v56, v57, v56
	v_mul_f16_e32 v57, 0x3964, v30
	v_add_f16_e32 v74, v82, v74
	v_add_f16_e32 v49, v81, v49
	;; [unrolled: 1-line block ×3, first 2 shown]
	v_fmamk_f16 v50, v80, 0xb836, v75
	v_fma_f16 v79, v25, 0xbacd, -v79
	v_fmac_f16_e32 v75, 0x3836, v80
	v_fmamk_f16 v81, v25, 0x39e9, v57
	v_mul_f16_e32 v82, 0x39e9, v52
	v_add_f16_e32 v50, v50, v59
	v_add_f16_e32 v59, v79, v60
	;; [unrolled: 1-line block ×4, first 2 shown]
	v_fmamk_f16 v61, v80, 0xb964, v82
	v_mul_f16_e32 v75, 0xbb29, v30
	v_fma_f16 v57, v25, 0x39e9, -v57
	v_fmac_f16_e32 v82, 0x3964, v80
	v_mul_f16_e32 v79, 0x3722, v52
	v_add_f16_e32 v61, v61, v62
	v_fmamk_f16 v62, v25, 0x3722, v75
	v_add_f16_e32 v57, v57, v58
	v_add_f16_e32 v58, v82, v64
	v_fmamk_f16 v64, v80, 0x3b29, v79
	v_mul_f16_e32 v81, 0xb1e1, v30
	v_add_f16_e32 v62, v62, v63
	v_fma_f16 v63, v25, 0x3722, -v75
	v_fmac_f16_e32 v79, 0xbb29, v80
	v_add_f16_e32 v64, v64, v66
	v_fmamk_f16 v66, v25, 0xbbdd, v81
	v_mul_f16_e32 v75, 0xbbdd, v52
	v_add_f16_e32 v63, v63, v65
	v_add_f16_e32 v65, v79, v68
	v_mul_f16_e32 v68, 0x3bf7, v30
	v_add_f16_e32 v66, v66, v67
	v_fmamk_f16 v67, v80, 0x31e1, v75
	v_fmac_f16_e32 v75, 0xb1e1, v80
	v_mul_f16_e32 v82, 0x2de8, v52
	v_fma_f16 v79, v25, 0xbbdd, -v81
	v_fmamk_f16 v81, v25, 0x2de8, v68
	v_fma_f16 v68, v25, 0x2de8, -v68
	v_add_f16_e32 v73, v75, v73
	v_fmamk_f16 v75, v80, 0xbbf7, v82
	v_fmac_f16_e32 v82, 0x3bf7, v80
	v_mul_f16_e32 v52, 0x3b76, v52
	v_add_f16_e32 v76, v83, v76
	v_mul_f16_e32 v30, 0xb5c8, v30
	v_add_f16_e32 v75, v75, v77
	v_add_f16_e32 v68, v68, v69
	;; [unrolled: 1-line block ×3, first 2 shown]
	v_fmamk_f16 v70, v80, 0x35c8, v52
	v_pk_add_f16 v77, v26, v24 neg_lo:[0,1] neg_hi:[0,1]
	v_add_f16_e32 v67, v67, v72
	v_add_f16_e32 v72, v79, v74
	;; [unrolled: 1-line block ×3, first 2 shown]
	v_fmamk_f16 v76, v25, 0x3b76, v30
	v_fma_f16 v30, v25, 0x3b76, -v30
	v_pk_add_f16 v24, v24, v26
	v_add_f16_e32 v26, v70, v27
	v_lshrrev_b32_e32 v27, 16, v77
	v_pk_mul_f16 v25, 0xb8d2, v25 op_sel_hi:[0,1]
	v_add_f16_e32 v30, v30, v51
	v_lshrrev_b32_e32 v51, 16, v24
	v_fmac_f16_e32 v52, 0xb5c8, v80
	v_mul_f16_e32 v70, 0xba62, v27
	v_add_f16_e32 v76, v76, v78
	v_pk_fma_f16 v78, 0xba62, v80, v25 op_sel:[0,0,1] op_sel_hi:[0,1,0]
	v_pk_fma_f16 v25, 0xba62, v80, v25 op_sel:[0,0,1] op_sel_hi:[0,1,0] neg_lo:[0,1,0] neg_hi:[0,1,0]
	v_mul_f16_e32 v79, 0xb8d2, v51
	v_add_f16_e32 v52, v52, v53
	v_fmamk_f16 v53, v24, 0xb8d2, v70
	v_pk_add_f16 v71, v78, v71
	v_pk_add_f16 v21, v25, v21
	v_fmamk_f16 v25, v77, 0x3a62, v79
	v_mul_f16_e32 v78, 0x3bb2, v27
	v_add_f16_e32 v53, v53, v55
	v_fma_f16 v55, v24, 0xb8d2, -v70
	v_mul_f16_e32 v70, 0xb461, v51
	v_fmac_f16_e32 v79, 0xba62, v77
	v_fmamk_f16 v80, v24, 0xb461, v78
	v_add_f16_e32 v25, v25, v28
	v_add_f16_e32 v28, v55, v56
	v_fmamk_f16 v55, v77, 0xbbb2, v70
	v_mul_f16_e32 v56, 0xb5c8, v27
	v_fma_f16 v78, v24, 0xb461, -v78
	v_add_f16_e32 v49, v79, v49
	v_fmac_f16_e32 v70, 0x3bb2, v77
	v_mul_f16_e32 v79, 0x3b76, v51
	v_add_f16_e32 v50, v55, v50
	v_fmamk_f16 v55, v24, 0x3b76, v56
	v_add_f16_e32 v59, v78, v59
	v_mul_f16_e32 v78, 0xb836, v27
	v_add_f16_e32 v29, v80, v29
	v_add_f16_e32 v54, v70, v54
	v_fmamk_f16 v70, v77, 0x35c8, v79
	v_add_f16_e32 v55, v55, v60
	v_fma_f16 v56, v24, 0x3b76, -v56
	v_fmac_f16_e32 v79, 0xb5c8, v77
	v_mul_f16_e32 v60, 0xbacd, v51
	v_fmamk_f16 v80, v24, 0xbacd, v78
	v_fma_f16 v78, v24, 0xbacd, -v78
	v_add_f16_e32 v61, v70, v61
	v_add_f16_e32 v56, v56, v57
	;; [unrolled: 1-line block ×3, first 2 shown]
	v_fmamk_f16 v58, v77, 0x3836, v60
	v_mul_f16_e32 v70, 0x3bf7, v27
	v_fmac_f16_e32 v60, 0xb836, v77
	v_mul_f16_e32 v79, 0x2de8, v51
	v_add_f16_e32 v63, v78, v63
	v_mul_f16_e32 v78, 0xb964, v27
	v_add_f16_e32 v62, v80, v62
	v_add_f16_e32 v58, v58, v64
	v_fmamk_f16 v64, v24, 0x2de8, v70
	v_add_f16_e32 v60, v60, v65
	v_fmamk_f16 v65, v77, 0xbbf7, v79
	v_fmac_f16_e32 v79, 0x3bf7, v77
	v_fmamk_f16 v80, v24, 0x39e9, v78
	v_add_f16_e32 v64, v64, v66
	v_fma_f16 v66, v24, 0x2de8, -v70
	v_mul_f16_e32 v70, 0x39e9, v51
	v_add_f16_e32 v65, v65, v67
	v_add_f16_e32 v67, v79, v73
	;; [unrolled: 1-line block ×3, first 2 shown]
	v_fma_f16 v74, v24, 0x39e9, -v78
	v_mul_f16_e32 v51, 0xbbdd, v51
	v_add_f16_e32 v66, v66, v72
	v_fmamk_f16 v72, v77, 0x3964, v70
	v_mul_f16_e32 v27, 0xb1e1, v27
	v_add_f16_e32 v68, v74, v68
	v_fmamk_f16 v74, v77, 0x31e1, v51
	v_pk_add_f16 v78, v22, v23 neg_lo:[0,1] neg_hi:[0,1]
	v_add_f16_e32 v72, v72, v75
	v_fmamk_f16 v75, v24, 0xbbdd, v27
	v_fma_f16 v27, v24, 0xbbdd, -v27
	v_add_f16_e32 v26, v74, v26
	v_lshrrev_b32_e32 v74, 16, v78
	v_pk_add_f16 v22, v23, v22
	v_pk_mul_f16 v23, 0x3722, v24 op_sel_hi:[0,1]
	v_add_f16_e32 v75, v75, v76
	v_add_f16_e32 v24, v27, v30
	v_fmac_f16_e32 v51, 0xb1e1, v77
	v_mul_f16_e32 v27, 0xb836, v74
	v_lshrrev_b32_e32 v30, 16, v22
	v_pk_fma_f16 v76, 0x3b29, v77, v23 op_sel:[0,0,1] op_sel_hi:[0,1,0]
	v_pk_fma_f16 v23, 0x3b29, v77, v23 op_sel:[0,0,1] op_sel_hi:[0,1,0] neg_lo:[0,1,0] neg_hi:[0,1,0]
	v_fmac_f16_e32 v70, 0xb964, v77
	v_add_f16_e32 v51, v51, v52
	v_fmamk_f16 v52, v22, 0xbacd, v27
	v_mul_f16_e32 v77, 0xbacd, v30
	v_pk_add_f16 v21, v23, v21
	v_mul_f16_e32 v23, 0x3b29, v74
	v_pk_add_f16 v71, v76, v71
	v_add_f16_e32 v52, v52, v53
	v_fmamk_f16 v53, v78, 0x3836, v77
	v_fma_f16 v27, v22, 0xbacd, -v27
	v_fmac_f16_e32 v77, 0xb836, v78
	v_fmamk_f16 v76, v22, 0x3722, v23
	v_mul_f16_e32 v79, 0x3722, v30
	v_add_f16_e32 v25, v53, v25
	v_add_f16_e32 v27, v27, v28
	;; [unrolled: 1-line block ×4, first 2 shown]
	v_fmamk_f16 v49, v78, 0xbb29, v79
	v_mul_f16_e32 v53, 0xbbf7, v74
	v_fma_f16 v23, v22, 0x3722, -v23
	v_mul_f16_e32 v76, 0x2de8, v30
	v_mul_f16_e32 v77, 0x3a62, v74
	v_add_f16_e32 v49, v49, v50
	v_fmamk_f16 v50, v22, 0x2de8, v53
	v_add_f16_e32 v23, v23, v59
	v_fmamk_f16 v59, v78, 0x3bf7, v76
	v_fma_f16 v53, v22, 0x2de8, -v53
	v_fmac_f16_e32 v76, 0xbbf7, v78
	v_fmac_f16_e32 v79, 0x3b29, v78
	v_add_f16_e32 v50, v50, v55
	v_add_f16_e32 v55, v59, v61
	v_fmamk_f16 v59, v22, 0xb8d2, v77
	v_mul_f16_e32 v61, 0xb8d2, v30
	v_add_f16_e32 v53, v53, v56
	v_add_f16_e32 v56, v76, v57
	v_mul_f16_e32 v57, 0xb5c8, v74
	v_add_f16_e32 v54, v79, v54
	v_add_f16_e32 v59, v59, v62
	v_fmamk_f16 v62, v78, 0xba62, v61
	v_fma_f16 v76, v22, 0xb8d2, -v77
	v_fmac_f16_e32 v61, 0x3a62, v78
	v_fmamk_f16 v77, v22, 0x3b76, v57
	v_mul_f16_e32 v79, 0x3b76, v30
	v_add_f16_e32 v58, v62, v58
	v_add_f16_e32 v62, v76, v63
	;; [unrolled: 1-line block ×4, first 2 shown]
	v_fmamk_f16 v63, v78, 0x35c8, v79
	v_mul_f16_e32 v64, 0xb1e1, v74
	v_fma_f16 v57, v22, 0x3b76, -v57
	v_fmac_f16_e32 v79, 0xb5c8, v78
	v_mul_f16_e32 v76, 0xbbdd, v30
	v_add_f16_e32 v63, v63, v65
	v_fmamk_f16 v65, v22, 0xbbdd, v64
	v_add_f16_e32 v57, v57, v66
	v_add_f16_e32 v66, v79, v67
	v_fmamk_f16 v67, v78, 0x31e1, v76
	v_mul_f16_e32 v30, 0x39e9, v30
	v_add_f16_e32 v69, v70, v69
	v_alignbit_b32 v70, v2, v1, 16
	v_fma_f16 v64, v22, 0xbbdd, -v64
	v_add_f16_e32 v65, v65, v73
	v_mul_f16_e32 v73, 0x3964, v74
	v_add_f16_e32 v67, v67, v72
	v_fmac_f16_e32 v76, 0xb1e1, v78
	v_fmamk_f16 v72, v78, 0xb964, v30
	v_alignbit_b32 v74, v1, v2, 16
	v_pk_add_f16 v1, v1, v2 neg_lo:[0,1] neg_hi:[0,1]
	v_add_f16_e32 v64, v64, v68
	v_fmamk_f16 v68, v22, 0x39e9, v73
	v_add_f16_e32 v2, v76, v69
	v_add_f16_e32 v26, v72, v26
	v_pk_add_f16 v69, v70, v74
	v_lshrrev_b32_e32 v70, 16, v1
	v_fma_f16 v72, v22, 0x39e9, -v73
	v_pk_mul_f16 v22, 0xb461, v22 op_sel_hi:[0,1]
	v_fmac_f16_e32 v30, 0x3964, v78
	v_lshrrev_b32_e32 v73, 16, v69
	v_mul_f16_e32 v74, 0xb1e1, v70
	v_add_f16_e32 v24, v72, v24
	v_pk_fma_f16 v72, 0xbbb2, v78, v22 op_sel:[0,0,1] op_sel_hi:[0,1,0]
	v_pk_fma_f16 v22, 0xbbb2, v78, v22 op_sel:[0,0,1] op_sel_hi:[0,1,0] neg_lo:[0,1,0] neg_hi:[0,1,0]
	v_add_f16_e32 v68, v68, v75
	v_add_f16_e32 v30, v30, v51
	v_fmamk_f16 v51, v73, 0xbbdd, v74
	v_mul_f16_e32 v75, 0xbbdd, v69
	v_pk_add_f16 v21, v22, v21
	v_mul_f16_e32 v22, 0x35c8, v70
	v_pk_add_f16 v71, v72, v71
	v_add_f16_e32 v51, v51, v52
	v_fmamk_f16 v52, v1, 0x31e1, v75
	v_fma_f16 v72, v73, 0xbbdd, -v74
	v_fmamk_f16 v74, v73, 0x3b76, v22
	v_mul_f16_e32 v76, 0x3b76, v69
	v_fmac_f16_e32 v75, 0xb1e1, v1
	v_add_f16_e32 v25, v52, v25
	v_add_f16_e32 v27, v72, v27
	;; [unrolled: 1-line block ×3, first 2 shown]
	v_fmamk_f16 v52, v1, 0xb5c8, v76
	v_mul_f16_e32 v72, 0xb836, v70
	v_fma_f16 v22, v73, 0x3b76, -v22
	v_fmac_f16_e32 v76, 0x35c8, v1
	v_mul_f16_e32 v74, 0xbacd, v69
	v_add_f16_e32 v28, v75, v28
	v_add_f16_e32 v49, v52, v49
	v_fmamk_f16 v52, v73, 0xbacd, v72
	v_add_f16_e32 v22, v22, v23
	v_add_f16_e32 v23, v76, v54
	v_fmamk_f16 v54, v1, 0x3836, v74
	v_mul_f16_e32 v75, 0x3964, v70
	v_add_f16_e32 v50, v52, v50
	v_fma_f16 v52, v73, 0xbacd, -v72
	v_fmac_f16_e32 v74, 0xb836, v1
	v_add_f16_e32 v54, v54, v55
	v_fmamk_f16 v55, v73, 0x39e9, v75
	v_mul_f16_e32 v72, 0x39e9, v69
	v_add_f16_e32 v52, v52, v53
	v_add_f16_e32 v53, v74, v56
	v_mul_f16_e32 v56, 0xba62, v70
	v_add_f16_e32 v55, v55, v59
	v_fmamk_f16 v59, v1, 0xb964, v72
	v_fma_f16 v74, v73, 0x39e9, -v75
	v_fmac_f16_e32 v72, 0x3964, v1
	v_mul_f16_e32 v76, 0xb8d2, v69
	v_fmamk_f16 v75, v73, 0xb8d2, v56
	v_add_f16_e32 v58, v59, v58
	v_add_f16_e32 v59, v74, v62
	;; [unrolled: 1-line block ×3, first 2 shown]
	v_fmamk_f16 v62, v1, 0x3a62, v76
	v_mul_f16_e32 v72, 0x3b29, v70
	v_fma_f16 v56, v73, 0xb8d2, -v56
	v_fmac_f16_e32 v76, 0xba62, v1
	v_mul_f16_e32 v74, 0x3722, v69
	v_add_f16_e32 v62, v62, v63
	v_fmamk_f16 v63, v73, 0x3722, v72
	v_add_f16_e32 v56, v56, v57
	v_add_f16_e32 v57, v76, v66
	v_fmamk_f16 v66, v1, 0xbb29, v74
	v_mul_f16_e32 v70, 0xbbb2, v70
	v_add_f16_e32 v63, v63, v65
	v_fma_f16 v65, v73, 0x3722, -v72
	v_mul_f16_e32 v72, 0xb461, v69
	v_add_f16_e32 v66, v66, v67
	v_fmamk_f16 v67, v73, 0xb461, v70
	v_fmac_f16_e32 v74, 0x3b29, v1
	v_add_f16_e32 v64, v65, v64
	v_pk_mul_f16 v65, 0x3bf7, v1 op_sel_hi:[0,1]
	v_fma_f16 v70, v73, 0xb461, -v70
	v_add_f16_e32 v67, v67, v68
	v_fmamk_f16 v68, v1, 0x3bb2, v72
	v_fmac_f16_e32 v72, 0xbbb2, v1
	v_pk_fma_f16 v1, 0x2de8, v69, v65 op_sel_hi:[0,1,1]
	v_pk_fma_f16 v65, 0x2de8, v69, v65 op_sel_hi:[0,1,1] neg_lo:[0,0,1] neg_hi:[0,0,1]
	v_add_f16_e32 v61, v75, v61
	v_add_f16_e32 v26, v68, v26
	;; [unrolled: 1-line block ×3, first 2 shown]
	v_pk_add_f16 v1, v1, v71
	v_pk_add_f16 v21, v65, v21
	v_add_f16_e32 v24, v70, v24
	v_pack_b32_f16 v26, v67, v26
	v_add_f16_e32 v30, v72, v30
	v_pack_b32_f16 v29, v29, v49
	v_pack_b32_f16 v25, v51, v25
	;; [unrolled: 1-line block ×6, first 2 shown]
	ds_store_2addr_b32 v32, v3, v26 offset1:7
	v_alignbit_b32 v3, v1, v21, 16
	v_alignbit_b32 v1, v21, v1, 16
	v_pack_b32_f16 v2, v64, v2
	v_pack_b32_f16 v21, v24, v30
	;; [unrolled: 1-line block ×7, first 2 shown]
	ds_store_2addr_b32 v32, v25, v29 offset0:1 offset1:2
	ds_store_2addr_b32 v32, v50, v49 offset0:3 offset1:4
	;; [unrolled: 1-line block ×7, first 2 shown]
	ds_store_b32 v32, v27 offset:64
	global_wb scope:SCOPE_SE
	s_wait_dscnt 0x0
	s_barrier_signal -1
	s_barrier_wait -1
	global_inv scope:SCOPE_SE
	ds_load_2addr_b32 v[1:2], v32 offset1:1
	ds_load_2addr_b32 v[25:26], v32 offset0:2 offset1:3
	ds_load_2addr_b32 v[23:24], v32 offset0:4 offset1:5
	;; [unrolled: 1-line block ×3, first 2 shown]
	s_wait_dscnt 0x3
	v_lshrrev_b32_e32 v3, 16, v1
	s_delay_alu instid0(VALU_DEP_1) | instskip(NEXT) | instid1(VALU_DEP_1)
	v_mul_f16_e32 v27, v48, v3
	v_fmac_f16_e32 v27, v16, v1
	v_mul_f16_e32 v1, v48, v1
	s_delay_alu instid0(VALU_DEP_2) | instskip(NEXT) | instid1(VALU_DEP_2)
	v_cvt_f32_f16_e32 v27, v27
	v_fma_f16 v1, v16, v3, -v1
	s_delay_alu instid0(VALU_DEP_2) | instskip(NEXT) | instid1(VALU_DEP_2)
	v_cvt_f64_f32_e32 v[27:28], v27
	v_cvt_f32_f16_e32 v1, v1
	s_delay_alu instid0(VALU_DEP_1) | instskip(SKIP_1) | instid1(VALU_DEP_1)
	v_cvt_f64_f32_e32 v[29:30], v1
	v_lshrrev_b32_e32 v1, 16, v2
	v_mul_f16_e32 v3, v47, v1
	s_delay_alu instid0(VALU_DEP_1) | instskip(SKIP_1) | instid1(VALU_DEP_2)
	v_fmac_f16_e32 v3, v17, v2
	v_mul_f16_e32 v2, v47, v2
	v_cvt_f32_f16_e32 v3, v3
	s_delay_alu instid0(VALU_DEP_2) | instskip(NEXT) | instid1(VALU_DEP_2)
	v_fma_f16 v1, v17, v1, -v2
	v_cvt_f64_f32_e32 v[48:49], v3
	s_delay_alu instid0(VALU_DEP_2) | instskip(SKIP_2) | instid1(VALU_DEP_2)
	v_cvt_f32_f16_e32 v1, v1
	v_mul_f64_e32 v[27:28], s[8:9], v[27:28]
	v_mul_f64_e32 v[29:30], s[8:9], v[29:30]
	v_and_or_b32 v3, 0x1ff, v28, v27
	v_lshrrev_b32_e32 v16, 8, v28
	v_bfe_u32 v27, v28, 20, 11
	s_delay_alu instid0(VALU_DEP_3)
	v_cmp_ne_u32_e32 vcc_lo, 0, v3
	v_and_or_b32 v2, 0x1ff, v30, v29
	v_lshrrev_b32_e32 v50, 8, v30
	v_bfe_u32 v52, v30, 20, 11
	s_wait_alu 0xfffd
	v_cndmask_b32_e64 v3, 0, 1, vcc_lo
	v_cmp_ne_u32_e32 vcc_lo, 0, v2
	v_cvt_f64_f32_e32 v[1:2], v1
	v_add_nc_u32_e32 v54, 0xfffffc10, v52
	s_delay_alu instid0(VALU_DEP_4)
	v_and_or_b32 v3, 0xffe, v16, v3
	v_sub_nc_u32_e32 v16, 0x3f1, v27
	s_wait_alu 0xfffd
	v_cndmask_b32_e64 v17, 0, 1, vcc_lo
	v_add_nc_u32_e32 v27, 0xfffffc10, v27
	v_or_b32_e32 v47, 0x1000, v3
	v_med3_i32 v16, v16, 0, 13
	s_delay_alu instid0(VALU_DEP_4) | instskip(NEXT) | instid1(VALU_DEP_4)
	v_and_or_b32 v53, 0xffe, v50, v17
	v_cmp_eq_u32_e64 s3, 0x40f, v27
	s_delay_alu instid0(VALU_DEP_3) | instskip(NEXT) | instid1(VALU_DEP_1)
	v_lshrrev_b32_e32 v29, v16, v47
	v_lshlrev_b32_e32 v51, v16, v29
	v_mul_f64_e32 v[16:17], s[8:9], v[48:49]
	v_sub_nc_u32_e32 v48, 0x3f1, v52
	v_or_b32_e32 v49, 0x1000, v53
	s_delay_alu instid0(VALU_DEP_4)
	v_cmp_ne_u32_e32 vcc_lo, v51, v47
	s_wait_dscnt 0x2
	v_lshrrev_b32_e32 v51, 16, v25
	v_med3_i32 v48, v48, 0, 13
	s_wait_alu 0xfffd
	v_cndmask_b32_e64 v47, 0, 1, vcc_lo
	v_cmp_gt_i32_e32 vcc_lo, 1, v27
	s_delay_alu instid0(VALU_DEP_3) | instskip(SKIP_1) | instid1(VALU_DEP_4)
	v_lshrrev_b32_e32 v50, v48, v49
	v_mul_f16_e32 v52, v46, v51
	v_or_b32_e32 v29, v29, v47
	v_lshl_or_b32 v47, v27, 12, v3
	s_delay_alu instid0(VALU_DEP_4) | instskip(NEXT) | instid1(VALU_DEP_4)
	v_lshlrev_b32_e32 v48, v48, v50
	v_fmac_f16_e32 v52, v18, v25
	v_mul_f64_e32 v[1:2], s[8:9], v[1:2]
	v_mul_f16_e32 v25, v46, v25
	s_wait_alu 0xfffd
	v_cndmask_b32_e32 v29, v47, v29, vcc_lo
	v_cmp_ne_u32_e64 s2, v48, v49
	s_delay_alu instid0(VALU_DEP_3) | instskip(NEXT) | instid1(VALU_DEP_3)
	v_fma_f16 v18, v18, v51, -v25
	v_and_b32_e32 v47, 7, v29
	s_delay_alu instid0(VALU_DEP_3) | instskip(SKIP_1) | instid1(VALU_DEP_4)
	v_cndmask_b32_e64 v49, 0, 1, s2
	v_lshrrev_b32_e32 v29, 2, v29
	v_cvt_f32_f16_e32 v18, v18
	s_delay_alu instid0(VALU_DEP_4) | instskip(SKIP_4) | instid1(VALU_DEP_4)
	v_cmp_lt_i32_e32 vcc_lo, 5, v47
	v_cmp_eq_u32_e64 s2, 3, v47
	v_or_b32_e32 v49, v50, v49
	v_lshl_or_b32 v50, v54, 12, v53
	v_mad_co_u64_u32 v[47:48], null, s6, v20, 0
	s_or_b32 vcc_lo, s2, vcc_lo
	s_wait_alu 0xfffe
	v_add_co_ci_u32_e32 v29, vcc_lo, 0, v29, vcc_lo
	v_cmp_ne_u32_e32 vcc_lo, 0, v3
	v_and_or_b32 v16, 0x1ff, v17, v16
	s_wait_alu 0xfffd
	v_cndmask_b32_e64 v3, 0, 1, vcc_lo
	v_cmp_gt_i32_e32 vcc_lo, 1, v54
	s_delay_alu instid0(VALU_DEP_2)
	v_lshl_or_b32 v58, v3, 9, 0x7c00
	s_wait_alu 0xfffd
	v_cndmask_b32_e32 v55, v50, v49, vcc_lo
	v_cmp_ne_u32_e32 vcc_lo, 0, v16
	v_lshrrev_b32_e32 v49, 8, v17
	v_cvt_f32_f16_e32 v50, v52
	v_bfe_u32 v52, v17, 20, 11
	v_and_b32_e32 v56, 7, v55
	s_wait_alu 0xfffd
	v_cndmask_b32_e64 v16, 0, 1, vcc_lo
	v_cmp_gt_i32_e32 vcc_lo, 31, v27
	v_mov_b32_e32 v3, v48
	v_sub_nc_u32_e32 v57, 0x3f1, v52
	v_cmp_eq_u32_e64 s2, 3, v56
	v_and_or_b32 v16, 0xffe, v49, v16
	s_wait_alu 0xfffd
	v_cndmask_b32_e32 v29, 0x7c00, v29, vcc_lo
	v_cmp_lt_i32_e32 vcc_lo, 5, v56
	v_med3_i32 v57, v57, 0, 13
	v_cvt_f64_f32_e32 v[49:50], v50
	v_or_b32_e32 v56, 0x1000, v16
	v_and_or_b32 v1, 0x1ff, v2, v1
	s_or_b32 vcc_lo, s2, vcc_lo
	v_lshrrev_b32_e32 v51, 8, v2
	s_delay_alu instid0(VALU_DEP_3) | instskip(NEXT) | instid1(VALU_DEP_1)
	v_lshrrev_b32_e32 v48, v57, v56
	v_lshlrev_b32_e32 v46, v57, v48
	v_lshrrev_b32_e32 v27, 2, v55
	v_bfe_u32 v57, v2, 20, 11
	v_lshrrev_b32_e32 v2, 16, v2
	s_wait_alu 0xfffe
	s_delay_alu instid0(VALU_DEP_3)
	v_add_co_ci_u32_e32 v27, vcc_lo, 0, v27, vcc_lo
	v_cmp_ne_u32_e32 vcc_lo, 0, v53
	v_lshrrev_b32_e32 v53, 16, v28
	s_wait_alu 0xfffd
	v_cndmask_b32_e64 v25, 0, 1, vcc_lo
	v_cmp_gt_i32_e32 vcc_lo, 31, v54
	s_delay_alu instid0(VALU_DEP_2)
	v_lshl_or_b32 v25, v25, 9, 0x7c00
	s_wait_alu 0xfffd
	v_cndmask_b32_e32 v55, 0x7c00, v27, vcc_lo
	v_cmp_ne_u32_e32 vcc_lo, 0, v1
	v_cvt_f64_f32_e32 v[27:28], v18
	s_wait_alu 0xfffd
	v_cndmask_b32_e64 v1, 0, 1, vcc_lo
	v_cmp_ne_u32_e32 vcc_lo, v46, v56
	v_add_nc_u32_e32 v56, 0xfffffc10, v52
	v_mul_f64_e32 v[49:50], s[8:9], v[49:50]
	v_sub_nc_u32_e32 v46, 0x3f1, v57
	v_and_or_b32 v1, 0xffe, v51, v1
	s_wait_alu 0xfffd
	v_cndmask_b32_e64 v18, 0, 1, vcc_lo
	v_cmp_gt_i32_e32 vcc_lo, 1, v56
	v_mad_co_u64_u32 v[51:52], null, s7, v20, v[3:4]
	v_med3_i32 v46, v46, 0, 13
	s_delay_alu instid0(VALU_DEP_4) | instskip(SKIP_3) | instid1(VALU_DEP_2)
	v_or_b32_e32 v18, v48, v18
	v_lshl_or_b32 v48, v56, 12, v16
	v_lshrrev_b32_e32 v52, 16, v26
	s_wait_alu 0xfffd
	v_cndmask_b32_e32 v3, v48, v18, vcc_lo
	v_cmp_eq_u32_e32 vcc_lo, 0x40f, v54
	v_mov_b32_e32 v48, v51
	s_wait_alu 0xfffd
	v_cndmask_b32_e32 v20, v55, v25, vcc_lo
	v_lshrrev_b32_e32 v25, 16, v30
	v_and_b32_e32 v30, 7, v3
	v_cndmask_b32_e64 v29, v29, v58, s3
	v_or_b32_e32 v58, 0x1000, v1
	s_load_b64 s[2:3], s[0:1], 0x38
	v_and_or_b32 v20, 0x8000, v25, v20
	v_cmp_lt_i32_e32 vcc_lo, 5, v30
	v_and_or_b32 v29, 0x8000, v53, v29
	v_lshrrev_b32_e32 v18, v46, v58
	v_cmp_eq_u32_e64 s0, 3, v30
	v_add_nc_u32_e32 v53, 0xfffffc10, v57
	v_mul_f64_e32 v[27:28], s[8:9], v[27:28]
	v_and_b32_e32 v25, 0xffff, v29
	v_lshlrev_b32_e32 v46, v46, v18
	v_mul_f16_e32 v29, v45, v52
	v_lshrrev_b32_e32 v3, 2, v3
	s_or_b32 vcc_lo, s0, vcc_lo
	v_lshl_or_b32 v20, v20, 16, v25
	v_cmp_ne_u32_e64 s1, v46, v58
	v_fmac_f16_e32 v29, v19, v26
	s_wait_alu 0xfffe
	v_add_co_ci_u32_e32 v3, vcc_lo, 0, v3, vcc_lo
	v_cmp_ne_u32_e32 vcc_lo, 0, v16
	s_wait_alu 0xf1ff
	v_cndmask_b32_e64 v30, 0, 1, s1
	v_cmp_gt_i32_e64 s1, 1, v53
	v_cvt_f32_f16_e32 v25, v29
	v_and_or_b32 v46, 0x1ff, v50, v49
	s_wait_alu 0xfffd
	v_cndmask_b32_e64 v16, 0, 1, vcc_lo
	v_or_b32_e32 v18, v18, v30
	v_lshl_or_b32 v30, v53, 12, v1
	v_cmp_gt_i32_e32 vcc_lo, 31, v56
	v_cmp_ne_u32_e64 s0, 0, v46
	v_lshl_or_b32 v16, v16, 9, 0x7c00
	v_lshrrev_b32_e32 v51, 8, v50
	s_wait_alu 0xf1ff
	v_cndmask_b32_e64 v18, v30, v18, s1
	v_cvt_f64_f32_e32 v[29:30], v25
	s_wait_alu 0xfffd
	v_cndmask_b32_e32 v3, 0x7c00, v3, vcc_lo
	v_cndmask_b32_e64 v49, 0, 1, s0
	v_bfe_u32 v54, v50, 20, 11
	v_and_b32_e32 v25, 7, v18
	v_lshrrev_b32_e32 v18, 2, v18
	v_lshlrev_b64_e32 v[46:47], 2, v[47:48]
	v_and_or_b32 v48, 0xffe, v51, v49
	v_lshrrev_b32_e32 v51, 16, v17
	v_cmp_lt_i32_e32 vcc_lo, 5, v25
	v_cmp_eq_u32_e64 s0, 3, v25
	v_sub_nc_u32_e32 v25, 0x3f1, v54
	v_or_b32_e32 v49, 0x1000, v48
	v_lshrrev_b32_e32 v50, 16, v50
	v_and_or_b32 v17, 0x1ff, v28, v27
	s_or_b32 vcc_lo, s0, vcc_lo
	v_med3_i32 v25, v25, 0, 13
	s_wait_alu 0xfffe
	v_add_co_ci_u32_e32 v18, vcc_lo, 0, v18, vcc_lo
	v_cmp_eq_u32_e32 vcc_lo, 0x40f, v56
	s_wait_alu 0xfffd
	v_cndmask_b32_e32 v3, v3, v16, vcc_lo
	v_cmp_ne_u32_e32 vcc_lo, 0, v1
	v_mul_f16_e32 v16, v45, v26
	v_lshrrev_b32_e32 v26, v25, v49
	v_add_nc_u32_e32 v45, 0xfffffc10, v54
	v_and_or_b32 v3, 0x8000, v51, v3
	s_wait_alu 0xfffd
	v_cndmask_b32_e64 v1, 0, 1, vcc_lo
	v_cmp_gt_i32_e32 vcc_lo, 31, v53
	v_fma_f16 v16, v19, v52, -v16
	v_lshlrev_b32_e32 v25, v25, v26
	v_and_b32_e32 v3, 0xffff, v3
	v_lshl_or_b32 v1, v1, 9, 0x7c00
	s_wait_alu 0xfffd
	v_cndmask_b32_e32 v18, 0x7c00, v18, vcc_lo
	v_cmp_ne_u32_e32 vcc_lo, 0, v17
	v_cvt_f32_f16_e32 v19, v16
	v_mul_f64_e32 v[16:17], s[8:9], v[29:30]
	v_lshrrev_b32_e32 v29, 8, v28
	v_bfe_u32 v30, v28, 20, 11
	s_wait_alu 0xfffd
	v_cndmask_b32_e64 v27, 0, 1, vcc_lo
	v_cmp_eq_u32_e32 vcc_lo, 0x40f, v53
	s_wait_dscnt 0x1
	v_lshrrev_b32_e32 v53, 16, v23
	v_lshrrev_b32_e32 v28, 16, v28
	v_and_or_b32 v27, 0xffe, v29, v27
	s_wait_alu 0xfffd
	v_cndmask_b32_e32 v1, v18, v1, vcc_lo
	v_cvt_f64_f32_e32 v[18:19], v19
	v_cmp_ne_u32_e32 vcc_lo, v25, v49
	v_sub_nc_u32_e32 v29, 0x3f1, v30
	v_or_b32_e32 v49, 0x1000, v27
	v_and_or_b32 v51, 0x8000, v2, v1
	s_wait_alu 0xfffd
	v_cndmask_b32_e64 v25, 0, 1, vcc_lo
	v_med3_i32 v29, v29, 0, 13
	v_cmp_gt_i32_e32 vcc_lo, 1, v45
	v_lshl_or_b32 v3, v51, 16, v3
	s_delay_alu instid0(VALU_DEP_4) | instskip(SKIP_3) | instid1(VALU_DEP_2)
	v_or_b32_e32 v25, v26, v25
	v_lshl_or_b32 v26, v45, 12, v48
	v_lshrrev_b32_e32 v52, v29, v49
	s_wait_alu 0xfffd
	v_cndmask_b32_e32 v25, v26, v25, vcc_lo
	s_wait_kmcnt 0x0
	v_add_co_u32 v1, vcc_lo, s2, v46
	v_lshlrev_b32_e32 v29, v29, v52
	v_mul_f16_e32 v46, v44, v53
	v_and_b32_e32 v26, 7, v25
	s_wait_alu 0xfffd
	v_add_co_ci_u32_e32 v2, vcc_lo, s3, v47, vcc_lo
	v_cmp_ne_u32_e64 s1, v29, v49
	v_fmac_f16_e32 v46, v12, v23
	v_cmp_lt_i32_e32 vcc_lo, 5, v26
	v_cmp_eq_u32_e64 s0, 3, v26
	v_lshrrev_b32_e32 v29, 2, v25
	s_wait_alu 0xf1ff
	v_cndmask_b32_e64 v26, 0, 1, s1
	v_add_nc_u32_e32 v47, 0xfffffc10, v30
	v_cvt_f32_f16_e32 v25, v46
	v_and_or_b32 v16, 0x1ff, v17, v16
	s_or_b32 vcc_lo, s0, vcc_lo
	v_or_b32_e32 v30, v52, v26
	s_wait_alu 0xfffe
	v_add_co_ci_u32_e32 v29, vcc_lo, 0, v29, vcc_lo
	v_mul_f64_e32 v[18:19], s[8:9], v[18:19]
	v_lshl_or_b32 v46, v47, 12, v27
	v_cvt_f64_f32_e32 v[25:26], v25
	v_cmp_ne_u32_e64 s1, 0, v16
	v_cmp_gt_i32_e32 vcc_lo, 1, v47
	v_lshrrev_b32_e32 v49, 8, v17
	v_bfe_u32 v51, v17, 20, 11
	s_lshl_b64 s[2:3], s[4:5], 2
	v_cndmask_b32_e64 v16, 0, 1, s1
	s_wait_alu 0xfffd
	v_cndmask_b32_e32 v46, v46, v30, vcc_lo
	v_cmp_ne_u32_e32 vcc_lo, 0, v48
	v_sub_nc_u32_e32 v30, 0x3f1, v51
	v_mul_f16_e32 v23, v44, v23
	v_and_or_b32 v16, 0xffe, v49, v16
	v_and_b32_e32 v49, 7, v46
	s_wait_alu 0xfffd
	v_cndmask_b32_e64 v48, 0, 1, vcc_lo
	v_cmp_gt_i32_e32 vcc_lo, 31, v45
	v_lshrrev_b32_e32 v46, 2, v46
	v_or_b32_e32 v52, 0x1000, v16
	v_cmp_eq_u32_e64 s0, 3, v49
	v_med3_i32 v54, v30, 0, 13
	s_wait_alu 0xfffd
	v_cndmask_b32_e32 v55, 0x7c00, v29, vcc_lo
	v_cmp_lt_i32_e32 vcc_lo, 5, v49
	s_wait_alu 0xfffe
	v_add_co_u32 v29, s1, v1, s2
	v_lshrrev_b32_e32 v49, v54, v52
	s_wait_alu 0xf1ff
	v_add_co_ci_u32_e64 v30, s1, s3, v2, s1
	s_or_b32 vcc_lo, s0, vcc_lo
	v_cmp_eq_u32_e64 s1, 0x40f, v45
	s_wait_alu 0xfffe
	v_add_co_ci_u32_e32 v46, vcc_lo, 0, v46, vcc_lo
	v_cmp_ne_u32_e32 vcc_lo, 0, v27
	v_lshlrev_b32_e32 v45, v54, v49
	v_add_nc_u32_e32 v51, 0xfffffc10, v51
	v_fma_f16 v12, v12, v53, -v23
	v_lshl_or_b32 v48, v48, 9, 0x7c00
	s_wait_alu 0xfffd
	v_cndmask_b32_e64 v27, 0, 1, vcc_lo
	v_cmp_gt_i32_e32 vcc_lo, 31, v47
	v_and_or_b32 v18, 0x1ff, v19, v18
	v_mul_f64_e32 v[25:26], s[8:9], v[25:26]
	v_lshrrev_b32_e32 v44, 8, v19
	v_lshl_or_b32 v27, v27, 9, 0x7c00
	s_wait_alu 0xfffd
	v_cndmask_b32_e32 v46, 0x7c00, v46, vcc_lo
	v_cmp_ne_u32_e32 vcc_lo, v45, v52
	v_bfe_u32 v52, v19, 20, 11
	v_cvt_f32_f16_e32 v12, v12
	s_wait_alu 0xf1ff
	v_cndmask_b32_e64 v48, v55, v48, s1
	global_store_b32 v[1:2], v20, off
	s_wait_alu 0xfffd
	v_cndmask_b32_e64 v45, 0, 1, vcc_lo
	v_cmp_ne_u32_e32 vcc_lo, 0, v18
	global_store_b32 v[29:30], v3, off
	v_cmp_eq_u32_e64 s1, 0x40f, v51
	v_lshrrev_b32_e32 v17, 16, v17
	v_or_b32_e32 v23, v49, v45
	s_wait_alu 0xfffd
	v_cndmask_b32_e64 v18, 0, 1, vcc_lo
	v_cmp_eq_u32_e32 vcc_lo, 0x40f, v47
	v_lshl_or_b32 v45, v51, 12, v16
	v_sub_nc_u32_e32 v49, 0x3f1, v52
	v_and_or_b32 v47, 0x8000, v50, v48
	v_and_or_b32 v18, 0xffe, v44, v18
	s_wait_alu 0xfffd
	v_cndmask_b32_e32 v27, v46, v27, vcc_lo
	v_cmp_gt_i32_e32 vcc_lo, 1, v51
	v_med3_i32 v46, v49, 0, 13
	s_wait_alu 0xfffd
	v_cndmask_b32_e32 v23, v45, v23, vcc_lo
	v_cvt_f64_f32_e32 v[44:45], v12
	v_or_b32_e32 v12, 0x1000, v18
	s_delay_alu instid0(VALU_DEP_3) | instskip(SKIP_1) | instid1(VALU_DEP_3)
	v_and_b32_e32 v48, 7, v23
	v_lshrrev_b32_e32 v3, 2, v23
	v_lshrrev_b32_e32 v20, v46, v12
	;; [unrolled: 1-line block ×3, first 2 shown]
	s_delay_alu instid0(VALU_DEP_4) | instskip(SKIP_1) | instid1(VALU_DEP_4)
	v_cmp_lt_i32_e32 vcc_lo, 5, v48
	v_cmp_eq_u32_e64 s0, 3, v48
	v_lshlrev_b32_e32 v46, v46, v20
	v_and_or_b32 v25, 0x1ff, v26, v25
	v_bfe_u32 v49, v26, 20, 11
	v_lshrrev_b32_e32 v48, 8, v26
	s_or_b32 vcc_lo, s0, vcc_lo
	v_lshrrev_b32_e32 v26, 16, v26
	s_wait_alu 0xfffe
	v_add_co_ci_u32_e32 v3, vcc_lo, 0, v3, vcc_lo
	v_cmp_ne_u32_e32 vcc_lo, v46, v12
	v_add_nc_u32_e32 v46, 0xfffffc10, v52
	s_wait_alu 0xfffd
	v_cndmask_b32_e64 v12, 0, 1, vcc_lo
	v_cmp_gt_i32_e32 vcc_lo, 31, v51
	s_delay_alu instid0(VALU_DEP_2)
	v_or_b32_e32 v12, v20, v12
	s_wait_alu 0xfffd
	v_cndmask_b32_e32 v3, 0x7c00, v3, vcc_lo
	v_cmp_ne_u32_e32 vcc_lo, 0, v25
	v_lshl_or_b32 v20, v46, 12, v18
	s_wait_alu 0xfffd
	v_cndmask_b32_e64 v25, 0, 1, vcc_lo
	v_cmp_gt_i32_e32 vcc_lo, 1, v46
	v_mul_f64_e32 v[29:30], s[8:9], v[44:45]
	s_delay_alu instid0(VALU_DEP_3)
	v_and_or_b32 v25, 0xffe, v48, v25
	s_wait_alu 0xfffd
	v_cndmask_b32_e32 v12, v20, v12, vcc_lo
	v_cmp_ne_u32_e32 vcc_lo, 0, v16
	v_sub_nc_u32_e32 v20, 0x3f1, v49
	v_or_b32_e32 v45, 0x1000, v25
	s_delay_alu instid0(VALU_DEP_4)
	v_and_b32_e32 v44, 7, v12
	s_wait_alu 0xfffd
	v_cndmask_b32_e64 v16, 0, 1, vcc_lo
	v_med3_i32 v20, v20, 0, 13
	v_lshrrev_b32_e32 v12, 2, v12
	v_cmp_lt_i32_e32 vcc_lo, 5, v44
	v_cmp_eq_u32_e64 s0, 3, v44
	v_add_nc_u32_e32 v44, 0xfffffc10, v49
	v_and_or_b32 v27, 0x8000, v28, v27
	v_and_b32_e32 v28, 0xffff, v47
	v_lshl_or_b32 v16, v16, 9, 0x7c00
	s_or_b32 vcc_lo, s0, vcc_lo
	s_delay_alu instid0(VALU_DEP_2) | instskip(SKIP_1) | instid1(VALU_DEP_3)
	v_lshl_or_b32 v47, v27, 16, v28
	v_mul_f16_e32 v27, v43, v23
	v_cndmask_b32_e64 v3, v3, v16, s1
	s_lshl_b64 s[0:1], s[4:5], 3
	s_delay_alu instid0(VALU_DEP_2) | instskip(SKIP_3) | instid1(VALU_DEP_4)
	v_fmac_f16_e32 v27, v13, v24
	v_mul_f16_e32 v24, v43, v24
	v_lshrrev_b32_e32 v43, v20, v45
	v_and_or_b32 v3, 0x8000, v17, v3
	v_cvt_f32_f16_e32 v27, v27
	s_delay_alu instid0(VALU_DEP_4) | instskip(NEXT) | instid1(VALU_DEP_4)
	v_fma_f16 v13, v13, v23, -v24
	v_lshlrev_b32_e32 v16, v20, v43
	s_wait_alu 0xfffe
	v_add_co_ci_u32_e32 v20, vcc_lo, 0, v12, vcc_lo
	v_cvt_f64_f32_e32 v[27:28], v27
	v_cvt_f32_f16_e32 v13, v13
	v_cmp_ne_u32_e32 vcc_lo, 0, v18
	v_lshl_or_b32 v23, v44, 12, v25
	v_and_or_b32 v24, 0x1ff, v30, v29
	v_lshrrev_b32_e32 v29, 8, v30
	v_cvt_f64_f32_e32 v[12:13], v13
	s_wait_alu 0xfffd
	v_cndmask_b32_e64 v18, 0, 1, vcc_lo
	v_cmp_gt_i32_e32 vcc_lo, 31, v46
	v_and_b32_e32 v48, 0xffff, v3
	s_delay_alu instid0(VALU_DEP_3)
	v_lshl_or_b32 v18, v18, 9, 0x7c00
	s_wait_alu 0xfffd
	v_cndmask_b32_e32 v20, 0x7c00, v20, vcc_lo
	v_cmp_ne_u32_e32 vcc_lo, v16, v45
	s_wait_alu 0xfffd
	v_cndmask_b32_e64 v16, 0, 1, vcc_lo
	v_cmp_eq_u32_e32 vcc_lo, 0x40f, v46
	s_delay_alu instid0(VALU_DEP_2)
	v_or_b32_e32 v16, v43, v16
	s_wait_alu 0xfffd
	v_cndmask_b32_e32 v45, v20, v18, vcc_lo
	v_cmp_gt_i32_e32 vcc_lo, 1, v44
	v_bfe_u32 v43, v30, 20, 11
	s_wait_alu 0xfffd
	v_cndmask_b32_e32 v16, v23, v16, vcc_lo
	v_cmp_ne_u32_e32 vcc_lo, 0, v24
	s_delay_alu instid0(VALU_DEP_2)
	v_and_b32_e32 v46, 7, v16
	v_mul_f64_e32 v[17:18], s[8:9], v[27:28]
	v_lshrrev_b32_e32 v27, 16, v19
	v_mad_co_u64_u32 v[19:20], null, s4, 12, v[1:2]
	s_wait_alu 0xfffd
	v_cndmask_b32_e64 v28, 0, 1, vcc_lo
	v_add_co_u32 v23, vcc_lo, v1, s0
	v_and_or_b32 v45, 0x8000, v27, v45
	v_sub_nc_u32_e32 v27, 0x3f1, v43
	s_delay_alu instid0(VALU_DEP_4)
	v_and_or_b32 v29, 0xffe, v29, v28
	v_mov_b32_e32 v3, v20
	s_wait_alu 0xfffd
	v_add_co_ci_u32_e32 v24, vcc_lo, s1, v2, vcc_lo
	v_med3_i32 v49, v27, 0, 13
	v_mul_f64_e32 v[27:28], s[8:9], v[12:13]
	v_cmp_lt_i32_e32 vcc_lo, 5, v46
	v_cmp_eq_u32_e64 s0, 3, v46
	v_mad_co_u64_u32 v[12:13], null, s5, 12, v[3:4]
	v_lshrrev_b32_e32 v3, 2, v16
	v_or_b32_e32 v20, 0x1000, v29
	s_delay_alu instid0(VALU_DEP_4)
	s_or_b32 vcc_lo, s0, vcc_lo
	s_wait_dscnt 0x0
	v_lshrrev_b32_e32 v46, 16, v21
	v_lshl_or_b32 v45, v45, 16, v48
	s_wait_alu 0xfffe
	v_add_co_ci_u32_e32 v3, vcc_lo, 0, v3, vcc_lo
	v_lshrrev_b32_e32 v13, v49, v20
	v_cmp_ne_u32_e32 vcc_lo, 0, v25
	s_delay_alu instid0(VALU_DEP_2) | instskip(SKIP_4) | instid1(VALU_DEP_3)
	v_lshlrev_b32_e32 v25, v49, v13
	s_wait_alu 0xfffd
	v_cndmask_b32_e64 v16, 0, 1, vcc_lo
	v_mul_f16_e32 v49, v42, v46
	v_cmp_gt_i32_e32 vcc_lo, 31, v44
	v_lshl_or_b32 v48, v16, 9, 0x7c00
	s_delay_alu instid0(VALU_DEP_3)
	v_fmac_f16_e32 v49, v14, v21
	s_wait_alu 0xfffd
	v_cndmask_b32_e32 v3, 0x7c00, v3, vcc_lo
	v_cmp_ne_u32_e32 vcc_lo, v25, v20
	v_and_or_b32 v17, 0x1ff, v18, v17
	v_add_nc_u32_e32 v25, 0xfffffc10, v43
	v_cvt_f32_f16_e32 v20, v49
	v_lshrrev_b32_e32 v49, 8, v18
	s_wait_alu 0xfffd
	v_cndmask_b32_e64 v16, 0, 1, vcc_lo
	v_cmp_ne_u32_e32 vcc_lo, 0, v17
	v_bfe_u32 v50, v18, 20, 11
	v_lshl_or_b32 v51, v25, 12, v29
	v_lshrrev_b32_e32 v18, 16, v18
	v_or_b32_e32 v13, v13, v16
	v_cvt_f64_f32_e32 v[16:17], v20
	s_wait_alu 0xfffd
	v_cndmask_b32_e64 v43, 0, 1, vcc_lo
	v_cmp_gt_i32_e32 vcc_lo, 1, v25
	v_mov_b32_e32 v20, v12
	v_and_or_b32 v27, 0x1ff, v28, v27
	s_clause 0x1
	global_store_b32 v[23:24], v47, off
	global_store_b32 v[19:20], v45, off
	v_and_or_b32 v43, 0xffe, v49, v43
	v_sub_nc_u32_e32 v49, 0x3f1, v50
	s_wait_alu 0xfffd
	v_cndmask_b32_e32 v12, v51, v13, vcc_lo
	v_cmp_eq_u32_e32 vcc_lo, 0x40f, v44
	v_mul_f16_e32 v20, v42, v21
	v_or_b32_e32 v13, 0x1000, v43
	v_med3_i32 v49, v49, 0, 13
	v_lshrrev_b32_e32 v21, 8, v28
	s_wait_alu 0xfffd
	v_cndmask_b32_e32 v3, v3, v48, vcc_lo
	v_cmp_ne_u32_e32 vcc_lo, 0, v27
	v_bfe_u32 v23, v28, 20, 11
	v_lshrrev_b32_e32 v48, v49, v13
	v_fma_f16 v14, v14, v46, -v20
	v_and_b32_e32 v44, 7, v12
	s_wait_alu 0xfffd
	v_cndmask_b32_e64 v19, 0, 1, vcc_lo
	v_lshrrev_b32_e32 v12, 2, v12
	v_lshlrev_b32_e32 v24, v49, v48
	v_cvt_f32_f16_e32 v14, v14
	v_cmp_lt_i32_e32 vcc_lo, 5, v44
	v_and_or_b32 v21, 0xffe, v21, v19
	v_sub_nc_u32_e32 v19, 0x3f1, v23
	v_cmp_ne_u32_e64 s0, v24, v13
	v_add_nc_u32_e32 v23, 0xfffffc10, v23
	v_and_or_b32 v3, 0x8000, v26, v3
	v_or_b32_e32 v27, 0x1000, v21
	v_med3_i32 v42, v19, 0, 13
	s_wait_alu 0xf1ff
	v_cndmask_b32_e64 v13, 0, 1, s0
	v_cmp_eq_u32_e64 s0, 3, v44
	v_cvt_f64_f32_e32 v[19:20], v14
	v_lshrrev_b32_e32 v46, v42, v27
	s_delay_alu instid0(VALU_DEP_4) | instskip(SKIP_2) | instid1(VALU_DEP_3)
	v_or_b32_e32 v44, v48, v13
	v_mul_f64_e32 v[13:14], s[8:9], v[16:17]
	s_or_b32 vcc_lo, s0, vcc_lo
	v_lshlrev_b32_e32 v17, v42, v46
	s_wait_alu 0xfffe
	v_add_co_ci_u32_e32 v12, vcc_lo, 0, v12, vcc_lo
	v_cmp_ne_u32_e32 vcc_lo, 0, v29
	s_delay_alu instid0(VALU_DEP_3)
	v_cmp_ne_u32_e64 s0, v17, v27
	v_lshl_or_b32 v27, v23, 12, v21
	s_wait_alu 0xfffd
	v_cndmask_b32_e64 v29, 0, 1, vcc_lo
	v_cmp_gt_i32_e32 vcc_lo, 31, v25
	s_wait_alu 0xf1ff
	v_cndmask_b32_e64 v17, 0, 1, s0
	s_delay_alu instid0(VALU_DEP_3) | instskip(SKIP_2) | instid1(VALU_DEP_3)
	v_lshl_or_b32 v26, v29, 9, 0x7c00
	s_wait_alu 0xfffd
	v_cndmask_b32_e32 v12, 0x7c00, v12, vcc_lo
	v_or_b32_e32 v17, v46, v17
	v_add_nc_u32_e32 v24, 0xfffffc10, v50
	s_delay_alu instid0(VALU_DEP_1) | instskip(SKIP_2) | instid1(VALU_DEP_1)
	v_lshl_or_b32 v45, v24, 12, v43
	v_cmp_gt_i32_e64 s1, 1, v24
	s_wait_alu 0xf1ff
	v_cndmask_b32_e64 v16, v45, v44, s1
	s_delay_alu instid0(VALU_DEP_1) | instskip(SKIP_2) | instid1(VALU_DEP_3)
	v_and_b32_e32 v42, 7, v16
	v_lshrrev_b32_e32 v16, 2, v16
	v_and_or_b32 v13, 0x1ff, v14, v13
	v_cmp_lt_i32_e32 vcc_lo, 5, v42
	v_cmp_eq_u32_e64 s0, 3, v42
	v_bfe_u32 v42, v14, 20, 11
	s_delay_alu instid0(VALU_DEP_4) | instskip(NEXT) | instid1(VALU_DEP_3)
	v_cmp_ne_u32_e64 s1, 0, v13
	s_or_b32 vcc_lo, s0, vcc_lo
	s_wait_alu 0xfffe
	v_add_co_ci_u32_e32 v16, vcc_lo, 0, v16, vcc_lo
	v_cmp_gt_i32_e32 vcc_lo, 1, v23
	v_cndmask_b32_e64 v13, 0, 1, s1
	s_wait_alu 0xfffd
	v_cndmask_b32_e32 v27, v27, v17, vcc_lo
	v_cmp_eq_u32_e32 vcc_lo, 0x40f, v25
	s_wait_alu 0xfffd
	v_cndmask_b32_e32 v12, v12, v26, vcc_lo
	v_cmp_ne_u32_e32 vcc_lo, 0, v43
	v_lshrrev_b32_e32 v26, 16, v30
	s_wait_alu 0xfffd
	v_cndmask_b32_e64 v25, 0, 1, vcc_lo
	v_cmp_gt_i32_e32 vcc_lo, 31, v24
	s_delay_alu instid0(VALU_DEP_3) | instskip(NEXT) | instid1(VALU_DEP_3)
	v_and_or_b32 v26, 0x8000, v26, v12
	v_lshl_or_b32 v25, v25, 9, 0x7c00
	s_wait_alu 0xfffd
	v_cndmask_b32_e32 v29, 0x7c00, v16, vcc_lo
	v_mul_f64_e32 v[16:17], s[8:9], v[19:20]
	v_and_b32_e32 v20, 7, v27
	v_lshrrev_b32_e32 v19, 16, v22
	s_delay_alu instid0(VALU_DEP_2) | instskip(NEXT) | instid1(VALU_DEP_2)
	v_cmp_lt_i32_e32 vcc_lo, 5, v20
	v_mul_f16_e32 v12, v41, v19
	v_cmp_eq_u32_e64 s0, 3, v20
	v_and_b32_e32 v20, 0xffff, v3
	v_lshrrev_b32_e32 v3, 2, v27
	v_lshrrev_b32_e32 v27, 8, v14
	v_fmac_f16_e32 v12, v15, v22
	s_or_b32 vcc_lo, s0, vcc_lo
	v_mul_f16_e32 v22, v41, v22
	s_wait_alu 0xfffe
	v_add_co_ci_u32_e32 v30, vcc_lo, 0, v3, vcc_lo
	v_cmp_ne_u32_e32 vcc_lo, 0, v21
	v_cvt_f32_f16_e32 v12, v12
	v_and_or_b32 v3, 0xffe, v27, v13
	v_sub_nc_u32_e32 v27, 0x3f1, v42
	v_fma_f16 v15, v15, v19, -v22
	s_wait_alu 0xfffd
	v_cndmask_b32_e64 v21, 0, 1, vcc_lo
	v_cmp_gt_i32_e32 vcc_lo, 31, v23
	v_cvt_f64_f32_e32 v[12:13], v12
	v_or_b32_e32 v44, 0x1000, v3
	v_med3_i32 v27, v27, 0, 13
	v_lshl_or_b32 v21, v21, 9, 0x7c00
	s_wait_alu 0xfffd
	v_cndmask_b32_e32 v30, 0x7c00, v30, vcc_lo
	v_cmp_eq_u32_e32 vcc_lo, 0x40f, v24
	v_cvt_f32_f16_e32 v15, v15
	v_lshrrev_b32_e32 v45, v27, v44
	s_lshl_b64 s[0:1], s[4:5], 4
	s_wait_alu 0xfffd
	v_cndmask_b32_e32 v24, v29, v25, vcc_lo
	v_cmp_eq_u32_e32 vcc_lo, 0x40f, v23
	v_mad_co_u64_u32 v[22:23], null, s4, 20, v[1:2]
	v_and_or_b32 v16, 0x1ff, v17, v16
	v_bfe_u32 v43, v17, 20, 11
	s_wait_alu 0xfffd
	v_cndmask_b32_e32 v19, v30, v21, vcc_lo
	v_lshlrev_b32_e32 v21, v27, v45
	v_lshl_or_b32 v30, v26, 16, v20
	v_cmp_ne_u32_e32 vcc_lo, 0, v16
	v_cvt_f64_f32_e32 v[26:27], v15
	v_lshrrev_b32_e32 v16, 8, v17
	v_and_or_b32 v18, 0x8000, v18, v24
	v_lshrrev_b32_e32 v25, 16, v28
	s_wait_alu 0xfffd
	v_cndmask_b32_e64 v15, 0, 1, vcc_lo
	v_cmp_ne_u32_e32 vcc_lo, v21, v44
	v_lshrrev_b32_e32 v17, 16, v17
	s_delay_alu instid0(VALU_DEP_3) | instskip(SKIP_4) | instid1(VALU_DEP_3)
	v_and_or_b32 v41, 0xffe, v16, v15
	s_wait_alu 0xfffd
	v_cndmask_b32_e64 v20, 0, 1, vcc_lo
	v_sub_nc_u32_e32 v15, 0x3f1, v43
	v_add_nc_u32_e32 v43, 0xfffffc10, v43
	v_or_b32_e32 v24, v45, v20
	v_add_nc_u32_e32 v42, 0xfffffc10, v42
	ds_load_2addr_b32 v[20:21], v32 offset0:8 offset1:9
	v_or_b32_e32 v45, 0x1000, v41
	v_med3_i32 v29, v15, 0, 13
	v_mul_f64_e32 v[15:16], s[8:9], v[12:13]
	v_lshl_or_b32 v28, v42, 12, v3
	v_cmp_gt_i32_e32 vcc_lo, 1, v42
	v_and_or_b32 v13, 0x8000, v25, v19
	v_mov_b32_e32 v12, v23
	v_lshrrev_b32_e32 v46, v29, v45
	s_wait_alu 0xfffd
	v_cndmask_b32_e32 v19, v28, v24, vcc_lo
	s_delay_alu instid0(VALU_DEP_3) | instskip(SKIP_2) | instid1(VALU_DEP_3)
	v_mad_co_u64_u32 v[23:24], null, s5, 20, v[12:13]
	s_wait_alu 0xfffe
	v_add_co_u32 v24, vcc_lo, v1, s0
	v_and_b32_e32 v12, 7, v19
	v_lshlrev_b32_e32 v47, v29, v46
	s_wait_alu 0xfffd
	v_add_co_ci_u32_e32 v25, vcc_lo, s1, v2, vcc_lo
	v_lshrrev_b32_e32 v48, 2, v19
	v_cmp_lt_i32_e32 vcc_lo, 5, v12
	v_cmp_eq_u32_e64 s0, 3, v12
	s_wait_dscnt 0x0
	v_lshrrev_b32_e32 v49, 16, v20
	v_cmp_ne_u32_e64 s1, v47, v45
	v_mul_f64_e32 v[26:27], s[8:9], v[26:27]
	s_or_b32 vcc_lo, s0, vcc_lo
	s_delay_alu instid0(VALU_DEP_3)
	v_mul_f16_e32 v47, v40, v49
	s_wait_alu 0xfffe
	v_add_co_ci_u32_e32 v48, vcc_lo, 0, v48, vcc_lo
	v_cndmask_b32_e64 v45, 0, 1, s1
	v_cmp_ne_u32_e32 vcc_lo, 0, v3
	v_fmac_f16_e32 v47, v8, v20
	v_mul_f16_e32 v20, v40, v20
	s_delay_alu instid0(VALU_DEP_4)
	v_or_b32_e32 v45, v46, v45
	v_lshl_or_b32 v46, v43, 12, v41
	s_wait_alu 0xfffd
	v_cndmask_b32_e64 v3, 0, 1, vcc_lo
	v_cmp_gt_i32_e32 vcc_lo, 1, v43
	v_fma_f16 v8, v8, v49, -v20
	v_and_or_b32 v15, 0x1ff, v16, v15
	s_delay_alu instid0(VALU_DEP_4)
	v_lshl_or_b32 v3, v3, 9, 0x7c00
	s_wait_alu 0xfffd
	v_cndmask_b32_e32 v50, v46, v45, vcc_lo
	v_cvt_f32_f16_e32 v45, v47
	v_cmp_gt_i32_e32 vcc_lo, 31, v42
	v_cmp_ne_u32_e64 s0, 0, v15
	v_cvt_f32_f16_e32 v8, v8
	s_delay_alu instid0(VALU_DEP_4)
	v_cvt_f64_f32_e32 v[45:46], v45
	s_wait_alu 0xfffd
	v_dual_cndmask_b32 v47, 0x7c00, v48 :: v_dual_and_b32 v48, 7, v50
	v_cmp_eq_u32_e32 vcc_lo, 0x40f, v42
	v_and_b32_e32 v18, 0xffff, v18
	s_wait_alu 0xf1ff
	v_cndmask_b32_e64 v15, 0, 1, s0
	v_lshrrev_b32_e32 v42, 8, v16
	v_cmp_eq_u32_e64 s0, 3, v48
	s_wait_alu 0xfffd
	v_cndmask_b32_e32 v3, v47, v3, vcc_lo
	v_cmp_lt_i32_e32 vcc_lo, 5, v48
	v_lshrrev_b32_e32 v48, 16, v14
	v_lshrrev_b32_e32 v14, 2, v50
	v_bfe_u32 v47, v16, 20, 11
	v_and_or_b32 v50, 0xffe, v42, v15
	s_or_b32 vcc_lo, s0, vcc_lo
	v_lshrrev_b32_e32 v49, 8, v27
	s_wait_alu 0xfffe
	v_add_co_ci_u32_e32 v40, vcc_lo, 0, v14, vcc_lo
	v_sub_nc_u32_e32 v15, 0x3f1, v47
	v_and_or_b32 v14, 0x1ff, v27, v26
	v_cmp_ne_u32_e32 vcc_lo, 0, v41
	v_or_b32_e32 v20, 0x1000, v50
	v_bfe_u32 v51, v27, 20, 11
	v_med3_i32 v26, v15, 0, 13
	v_lshl_or_b32 v44, v13, 16, v18
	s_wait_alu 0xfffd
	v_cndmask_b32_e64 v41, 0, 1, vcc_lo
	v_cmp_ne_u32_e32 vcc_lo, 0, v14
	v_cvt_f64_f32_e32 v[14:15], v8
	v_lshrrev_b32_e32 v8, v26, v20
	v_and_or_b32 v3, 0x8000, v48, v3
	v_lshl_or_b32 v53, v41, 9, 0x7c00
	s_wait_alu 0xfffd
	v_cndmask_b32_e64 v42, 0, 1, vcc_lo
	v_cmp_gt_i32_e32 vcc_lo, 31, v43
	v_lshlrev_b32_e32 v26, v26, v8
	ds_load_2addr_b32 v[28:29], v32 offset0:10 offset1:11
	ds_load_2addr_b32 v[18:19], v32 offset0:12 offset1:13
	;; [unrolled: 1-line block ×3, first 2 shown]
	v_and_b32_e32 v3, 0xffff, v3
	v_and_or_b32 v49, 0xffe, v49, v42
	s_wait_alu 0xfffd
	v_cndmask_b32_e32 v52, 0x7c00, v40, vcc_lo
	v_mul_f64_e32 v[40:41], s[8:9], v[45:46]
	v_sub_nc_u32_e32 v42, 0x3f1, v51
	v_cmp_ne_u32_e32 vcc_lo, v26, v20
	v_or_b32_e32 v45, 0x1000, v49
	v_add_nc_u32_e32 v26, 0xfffffc10, v47
	global_store_b32 v[24:25], v30, off
	v_med3_i32 v42, v42, 0, 13
	s_wait_alu 0xfffd
	v_cndmask_b32_e64 v20, 0, 1, vcc_lo
	v_cmp_eq_u32_e32 vcc_lo, 0x40f, v43
	global_store_b32 v[22:23], v44, off
	v_add_nc_u32_e32 v24, 0xfffffc10, v51
	v_lshrrev_b32_e32 v46, v42, v45
	v_or_b32_e32 v8, v8, v20
	s_wait_alu 0xfffd
	v_cndmask_b32_e32 v43, v52, v53, vcc_lo
	v_lshl_or_b32 v20, v26, 12, v50
	v_cmp_gt_i32_e32 vcc_lo, 1, v26
	v_lshlrev_b32_e32 v47, v42, v46
	v_lshrrev_b32_e32 v25, 16, v21
	v_and_or_b32 v17, 0x8000, v17, v43
	v_cmp_gt_i32_e64 s1, 1, v24
	s_wait_alu 0xfffd
	v_cndmask_b32_e32 v8, v20, v8, vcc_lo
	v_cmp_ne_u32_e32 vcc_lo, v47, v45
	v_mad_co_u64_u32 v[42:43], null, s4, 24, v[1:2]
	v_lshl_or_b32 v30, v17, 16, v3
	s_delay_alu instid0(VALU_DEP_4)
	v_and_b32_e32 v20, 7, v8
	s_wait_alu 0xfffd
	v_cndmask_b32_e64 v22, 0, 1, vcc_lo
	v_mul_f64_e32 v[14:15], s[8:9], v[14:15]
	v_lshrrev_b32_e32 v8, 2, v8
	v_cmp_lt_i32_e32 vcc_lo, 5, v20
	v_cmp_eq_u32_e64 s0, 3, v20
	v_or_b32_e32 v17, v46, v22
	v_lshl_or_b32 v20, v24, 12, v49
	v_mov_b32_e32 v3, v43
	v_lshrrev_b32_e32 v46, 16, v16
	s_or_b32 vcc_lo, s0, vcc_lo
	s_wait_alu 0xfffe
	v_add_co_ci_u32_e32 v8, vcc_lo, 0, v8, vcc_lo
	v_cndmask_b32_e64 v17, v20, v17, s1
	v_mul_f16_e32 v20, v39, v25
	v_and_or_b32 v22, 0x1ff, v41, v40
	v_cmp_ne_u32_e32 vcc_lo, 0, v50
	v_lshrrev_b32_e32 v45, 8, v41
	v_and_b32_e32 v40, 7, v17
	v_fmac_f16_e32 v20, v9, v21
	v_cmp_ne_u32_e64 s0, 0, v22
	s_wait_alu 0xfffd
	v_cndmask_b32_e64 v43, 0, 1, vcc_lo
	v_cmp_gt_i32_e32 vcc_lo, 31, v26
	v_lshrrev_b32_e32 v17, 2, v17
	v_cvt_f32_f16_e32 v20, v20
	s_wait_alu 0xf1ff
	v_cndmask_b32_e64 v44, 0, 1, s0
	v_cmp_eq_u32_e64 s0, 3, v40
	s_wait_alu 0xfffd
	v_cndmask_b32_e32 v8, 0x7c00, v8, vcc_lo
	v_cmp_lt_i32_e32 vcc_lo, 5, v40
	v_cvt_f64_f32_e32 v[22:23], v20
	v_bfe_u32 v20, v41, 20, 11
	v_lshl_or_b32 v40, v43, 9, 0x7c00
	v_and_or_b32 v43, 0xffe, v45, v44
	s_or_b32 vcc_lo, s0, vcc_lo
	v_mul_f16_e32 v21, v39, v21
	s_wait_alu 0xfffe
	v_add_co_ci_u32_e32 v17, vcc_lo, 0, v17, vcc_lo
	v_cmp_ne_u32_e32 vcc_lo, 0, v49
	v_sub_nc_u32_e32 v44, 0x3f1, v20
	v_or_b32_e32 v45, 0x1000, v43
	v_and_or_b32 v14, 0x1ff, v15, v14
	v_lshrrev_b32_e32 v41, 16, v41
	s_wait_alu 0xfffd
	v_cndmask_b32_e64 v39, 0, 1, vcc_lo
	v_cmp_eq_u32_e32 vcc_lo, 0x40f, v26
	v_med3_i32 v44, v44, 0, 13
	s_wait_alu 0xfffd
	v_cndmask_b32_e32 v26, v8, v40, vcc_lo
	v_cmp_gt_i32_e32 vcc_lo, 31, v24
	v_fma_f16 v8, v9, v25, -v21
	v_lshrrev_b32_e32 v21, v44, v45
	v_lshl_or_b32 v25, v39, 9, 0x7c00
	v_lshrrev_b32_e32 v39, 8, v15
	s_wait_alu 0xfffd
	v_cndmask_b32_e32 v17, 0x7c00, v17, vcc_lo
	v_cmp_ne_u32_e32 vcc_lo, 0, v14
	v_lshlrev_b32_e32 v44, v44, v21
	v_cvt_f32_f16_e32 v8, v8
	v_bfe_u32 v40, v15, 20, 11
	s_wait_alu 0xfffd
	v_cndmask_b32_e64 v14, 0, 1, vcc_lo
	v_cmp_eq_u32_e32 vcc_lo, 0x40f, v24
	v_cvt_f64_f32_e32 v[8:9], v8
	s_delay_alu instid0(VALU_DEP_3)
	v_and_or_b32 v14, 0xffe, v39, v14
	s_wait_alu 0xfffd
	v_cndmask_b32_e32 v24, v17, v25, vcc_lo
	v_cmp_ne_u32_e32 vcc_lo, v44, v45
	v_add_nc_u32_e32 v44, 0xfffffc10, v20
	v_mul_f64_e32 v[16:17], s[8:9], v[22:23]
	v_sub_nc_u32_e32 v39, 0x3f1, v40
	v_or_b32_e32 v45, 0x1000, v14
	s_wait_alu 0xfffd
	v_cndmask_b32_e64 v25, 0, 1, vcc_lo
	v_lshl_or_b32 v23, v44, 12, v43
	v_cmp_gt_i32_e32 vcc_lo, 1, v44
	v_med3_i32 v39, v39, 0, 13
	s_delay_alu instid0(VALU_DEP_4) | instskip(SKIP_2) | instid1(VALU_DEP_4)
	v_or_b32_e32 v22, v21, v25
	v_lshrrev_b32_e32 v25, 16, v27
	v_mad_co_u64_u32 v[20:21], null, s4, 28, v[1:2]
	v_lshrrev_b32_e32 v47, v39, v45
	s_wait_alu 0xfffd
	v_cndmask_b32_e32 v27, v23, v22, vcc_lo
	v_mad_co_u64_u32 v[22:23], null, s5, 24, v[3:4]
	v_and_or_b32 v23, 0x8000, v46, v26
	v_lshlrev_b32_e32 v39, v39, v47
	s_delay_alu instid0(VALU_DEP_4) | instskip(SKIP_1) | instid1(VALU_DEP_4)
	v_dual_mov_b32 v3, v21 :: v_dual_and_b32 v26, 7, v27
	v_and_or_b32 v46, 0x8000, v25, v24
	v_and_b32_e32 v21, 0xffff, v23
	v_lshrrev_b32_e32 v23, 2, v27
	s_delay_alu instid0(VALU_DEP_4) | instskip(SKIP_3) | instid1(VALU_DEP_3)
	v_cmp_lt_i32_e32 vcc_lo, 5, v26
	v_cmp_eq_u32_e64 s0, 3, v26
	v_cmp_ne_u32_e64 s1, v39, v45
	v_add_nc_u32_e32 v39, 0xfffffc10, v40
	s_or_b32 vcc_lo, s0, vcc_lo
	s_delay_alu instid0(VALU_DEP_2)
	v_cndmask_b32_e64 v24, 0, 1, s1
	s_wait_alu 0xfffe
	v_add_co_ci_u32_e32 v23, vcc_lo, 0, v23, vcc_lo
	v_cmp_ne_u32_e32 vcc_lo, 0, v43
	v_lshl_or_b32 v27, v39, 12, v14
	v_or_b32_e32 v26, v47, v24
	v_mul_f64_e32 v[8:9], s[8:9], v[8:9]
	v_mov_b32_e32 v43, v22
	s_wait_alu 0xfffd
	v_cndmask_b32_e64 v25, 0, 1, vcc_lo
	v_cmp_gt_i32_e32 vcc_lo, 31, v44
	s_delay_alu instid0(VALU_DEP_2)
	v_lshl_or_b32 v25, v25, 9, 0x7c00
	s_wait_alu 0xfffd
	v_cndmask_b32_e32 v40, 0x7c00, v23, vcc_lo
	v_cmp_gt_i32_e32 vcc_lo, 1, v39
	v_mad_co_u64_u32 v[23:24], null, s5, 28, v[3:4]
	v_and_or_b32 v3, 0x1ff, v17, v16
	s_wait_dscnt 0x2
	v_lshrrev_b32_e32 v16, 16, v28
	s_wait_alu 0xfffd
	v_cndmask_b32_e32 v26, v27, v26, vcc_lo
	v_cmp_eq_u32_e32 vcc_lo, 0x40f, v44
	v_lshrrev_b32_e32 v27, 8, v17
	v_bfe_u32 v44, v17, 20, 11
	v_mul_f16_e32 v24, v38, v16
	s_wait_alu 0xfffd
	v_cndmask_b32_e32 v40, v40, v25, vcc_lo
	v_cmp_ne_u32_e32 vcc_lo, 0, v3
	v_and_b32_e32 v25, 7, v26
	v_fmac_f16_e32 v24, v10, v28
	v_sub_nc_u32_e32 v22, 0x3f1, v44
	s_wait_alu 0xfffd
	v_cndmask_b32_e64 v3, 0, 1, vcc_lo
	v_cmp_lt_i32_e32 vcc_lo, 5, v25
	v_cvt_f32_f16_e32 v24, v24
	v_cmp_eq_u32_e64 s0, 3, v25
	v_med3_i32 v22, v22, 0, 13
	v_and_or_b32 v3, 0xffe, v27, v3
	v_mul_f16_e32 v27, v38, v28
	v_cvt_f64_f32_e32 v[24:25], v24
	v_lshl_or_b32 v38, v46, 16, v21
	v_lshrrev_b32_e32 v21, 2, v26
	s_or_b32 vcc_lo, s0, vcc_lo
	v_fma_f16 v10, v10, v16, -v27
	v_or_b32_e32 v28, 0x1000, v3
	v_and_or_b32 v8, 0x1ff, v9, v8
	s_wait_alu 0xfffe
	v_add_co_ci_u32_e32 v21, vcc_lo, 0, v21, vcc_lo
	v_cvt_f32_f16_e32 v10, v10
	v_cmp_ne_u32_e32 vcc_lo, 0, v14
	v_lshrrev_b32_e32 v16, v22, v28
	v_bfe_u32 v45, v9, 20, 11
	s_delay_alu instid0(VALU_DEP_4) | instskip(SKIP_4) | instid1(VALU_DEP_3)
	v_cvt_f64_f32_e32 v[26:27], v10
	s_wait_alu 0xfffd
	v_cndmask_b32_e64 v14, 0, 1, vcc_lo
	v_cmp_gt_i32_e32 vcc_lo, 31, v39
	v_lshlrev_b32_e32 v22, v22, v16
	v_lshl_or_b32 v14, v14, 9, 0x7c00
	s_wait_alu 0xfffd
	v_cndmask_b32_e32 v10, 0x7c00, v21, vcc_lo
	v_cmp_ne_u32_e32 vcc_lo, 0, v8
	v_lshrrev_b32_e32 v21, 8, v9
	s_wait_alu 0xfffd
	v_cndmask_b32_e64 v8, 0, 1, vcc_lo
	v_cmp_ne_u32_e32 vcc_lo, v22, v28
	v_add_nc_u32_e32 v28, 0xfffffc10, v44
	s_delay_alu instid0(VALU_DEP_3)
	v_and_or_b32 v8, 0xffe, v21, v8
	s_wait_alu 0xfffd
	v_cndmask_b32_e64 v22, 0, 1, vcc_lo
	v_cmp_eq_u32_e32 vcc_lo, 0x40f, v39
	v_sub_nc_u32_e32 v21, 0x3f1, v45
	v_lshrrev_b32_e32 v39, 16, v15
	v_or_b32_e32 v44, 0x1000, v8
	v_or_b32_e32 v16, v16, v22
	v_lshl_or_b32 v22, v28, 12, v3
	s_wait_alu 0xfffd
	v_cndmask_b32_e32 v10, v10, v14, vcc_lo
	v_cmp_gt_i32_e32 vcc_lo, 1, v28
	v_med3_i32 v46, v21, 0, 13
	v_mul_f64_e32 v[14:15], s[8:9], v[24:25]
	v_mov_b32_e32 v21, v23
	v_and_or_b32 v23, 0x8000, v41, v40
	s_wait_alu 0xfffd
	v_cndmask_b32_e32 v16, v22, v16, vcc_lo
	v_lshrrev_b32_e32 v22, v46, v44
	v_and_or_b32 v10, 0x8000, v39, v10
	s_clause 0x1
	global_store_b32 v[42:43], v30, off
	global_store_b32 v[20:21], v38, off
	v_and_b32_e32 v23, 0xffff, v23
	v_and_b32_e32 v24, 7, v16
	v_lshlrev_b32_e32 v25, v46, v22
	v_mul_f64_e32 v[20:21], s[8:9], v[26:27]
	v_add_nc_u32_e32 v38, 0xfffffc10, v45
	v_lshl_or_b32 v30, v10, 16, v23
	v_cmp_lt_i32_e32 vcc_lo, 5, v24
	v_cmp_eq_u32_e64 s0, 3, v24
	v_lshrrev_b32_e32 v10, 2, v16
	v_cmp_ne_u32_e64 s1, v25, v44
	v_lshrrev_b32_e32 v26, 16, v29
	v_lshrrev_b32_e32 v40, 16, v17
	s_or_b32 vcc_lo, s0, vcc_lo
	s_wait_alu 0xfffe
	v_add_co_ci_u32_e32 v10, vcc_lo, 0, v10, vcc_lo
	v_cndmask_b32_e64 v16, 0, 1, s1
	v_cmp_ne_u32_e32 vcc_lo, 0, v3
	v_mul_f16_e32 v23, v37, v26
	s_lshl_b64 s[0:1], s[4:5], 5
	s_delay_alu instid0(VALU_DEP_3)
	v_or_b32_e32 v16, v22, v16
	v_lshl_or_b32 v22, v38, 12, v8
	s_wait_alu 0xfffd
	v_cndmask_b32_e64 v3, 0, 1, vcc_lo
	v_cmp_gt_i32_e32 vcc_lo, 1, v38
	v_fmac_f16_e32 v23, v11, v29
	s_delay_alu instid0(VALU_DEP_3)
	v_lshl_or_b32 v3, v3, 9, 0x7c00
	s_wait_alu 0xfffd
	v_cndmask_b32_e32 v16, v22, v16, vcc_lo
	v_cmp_gt_i32_e32 vcc_lo, 31, v28
	v_cvt_f32_f16_e32 v25, v23
	v_and_or_b32 v14, 0x1ff, v15, v14
	v_bfe_u32 v27, v15, 20, 11
	v_and_b32_e32 v24, 7, v16
	s_wait_alu 0xfffd
	v_cndmask_b32_e32 v10, 0x7c00, v10, vcc_lo
	s_wait_alu 0xfffe
	v_add_co_u32 v22, vcc_lo, v1, s0
	s_wait_alu 0xfffd
	v_add_co_ci_u32_e32 v23, vcc_lo, s1, v2, vcc_lo
	v_cmp_eq_u32_e64 s1, 0x40f, v28
	v_cmp_lt_i32_e32 vcc_lo, 5, v24
	v_cmp_eq_u32_e64 s0, 3, v24
	v_cvt_f64_f32_e32 v[24:25], v25
	v_mul_f16_e32 v28, v37, v29
	s_wait_alu 0xf1ff
	v_cndmask_b32_e64 v3, v10, v3, s1
	v_lshrrev_b32_e32 v10, 2, v16
	s_or_b32 vcc_lo, s0, vcc_lo
	v_cmp_ne_u32_e64 s1, 0, v14
	v_and_or_b32 v20, 0x1ff, v21, v20
	v_lshrrev_b32_e32 v16, 8, v15
	s_wait_alu 0xfffe
	v_add_co_ci_u32_e32 v10, vcc_lo, 0, v10, vcc_lo
	v_cmp_ne_u32_e32 vcc_lo, 0, v8
	s_wait_alu 0xf1ff
	v_cndmask_b32_e64 v14, 0, 1, s1
	v_fma_f16 v11, v11, v26, -v28
	v_lshrrev_b32_e32 v28, 8, v21
	v_bfe_u32 v29, v21, 20, 11
	s_wait_alu 0xfffd
	v_cndmask_b32_e64 v8, 0, 1, vcc_lo
	v_cmp_ne_u32_e32 vcc_lo, 0, v20
	v_and_or_b32 v14, 0xffe, v16, v14
	v_sub_nc_u32_e32 v16, 0x3f1, v27
	v_cvt_f32_f16_e32 v11, v11
	v_lshl_or_b32 v8, v8, 9, 0x7c00
	s_wait_alu 0xfffd
	v_cndmask_b32_e64 v20, 0, 1, vcc_lo
	v_cmp_gt_i32_e32 vcc_lo, 31, v38
	v_or_b32_e32 v26, 0x1000, v14
	v_med3_i32 v16, v16, 0, 13
	global_store_b32 v[22:23], v30, off
	v_and_or_b32 v20, 0xffe, v28, v20
	s_wait_alu 0xfffd
	v_cndmask_b32_e32 v37, 0x7c00, v10, vcc_lo
	v_cvt_f64_f32_e32 v[10:11], v11
	v_lshrrev_b32_e32 v39, v16, v26
	v_sub_nc_u32_e32 v28, 0x3f1, v29
	v_cmp_eq_u32_e32 vcc_lo, 0x40f, v38
	v_or_b32_e32 v41, 0x1000, v20
	v_lshrrev_b32_e32 v38, 16, v9
	v_lshlrev_b32_e32 v16, v16, v39
	v_med3_i32 v28, v28, 0, 13
	s_wait_alu 0xfffd
	v_cndmask_b32_e32 v37, v37, v8, vcc_lo
	v_and_or_b32 v22, 0x8000, v40, v3
	v_mul_f64_e32 v[8:9], s[8:9], v[24:25]
	v_cmp_ne_u32_e32 vcc_lo, v16, v26
	v_lshrrev_b32_e32 v25, v28, v41
	v_add_nc_u32_e32 v26, 0xfffffc10, v27
	v_mad_co_u64_u32 v[16:17], null, s4, 36, v[1:2]
	s_wait_alu 0xfffd
	v_cndmask_b32_e64 v24, 0, 1, vcc_lo
	v_lshlrev_b32_e32 v27, v28, v25
	v_lshl_or_b32 v28, v26, 12, v14
	v_cmp_gt_i32_e32 vcc_lo, 1, v26
	v_and_or_b32 v30, 0x8000, v38, v37
	v_or_b32_e32 v24, v39, v24
	v_mov_b32_e32 v3, v17
	s_wait_alu 0xfffd
	s_delay_alu instid0(VALU_DEP_2) | instskip(SKIP_1) | instid1(VALU_DEP_3)
	v_dual_cndmask_b32 v24, v28, v24 :: v_dual_and_b32 v17, 0xffff, v22
	v_cmp_ne_u32_e32 vcc_lo, v27, v41
	v_mad_co_u64_u32 v[22:23], null, s5, 36, v[3:4]
	v_add_nc_u32_e32 v28, 0xfffffc10, v29
	s_delay_alu instid0(VALU_DEP_4)
	v_and_b32_e32 v29, 7, v24
	s_wait_alu 0xfffd
	v_cndmask_b32_e64 v27, 0, 1, vcc_lo
	v_lshl_or_b32 v30, v30, 16, v17
	v_lshl_or_b32 v23, v28, 12, v20
	v_cmp_lt_i32_e32 vcc_lo, 5, v29
	s_delay_alu instid0(VALU_DEP_4)
	v_or_b32_e32 v3, v25, v27
	s_wait_dscnt 0x1
	v_lshrrev_b32_e32 v25, 16, v18
	v_mul_f64_e32 v[10:11], s[8:9], v[10:11]
	v_cmp_eq_u32_e64 s0, 3, v29
	v_mov_b32_e32 v17, v22
	v_lshrrev_b32_e32 v22, 2, v24
	v_mul_f16_e32 v24, v36, v25
	v_cmp_gt_i32_e64 s1, 1, v28
	s_or_b32 vcc_lo, s0, vcc_lo
	global_store_b32 v[16:17], v30, off
	s_wait_alu 0xfffe
	v_add_co_ci_u32_e32 v22, vcc_lo, 0, v22, vcc_lo
	v_fmac_f16_e32 v24, v4, v18
	v_cmp_ne_u32_e32 vcc_lo, 0, v14
	v_cndmask_b32_e64 v3, v23, v3, s1
	v_and_or_b32 v8, 0x1ff, v9, v8
	v_mul_f16_e32 v18, v36, v18
	v_cvt_f32_f16_e32 v23, v24
	s_wait_alu 0xfffd
	v_cndmask_b32_e64 v14, 0, 1, vcc_lo
	v_cmp_gt_i32_e32 vcc_lo, 31, v26
	v_and_b32_e32 v27, 7, v3
	v_lshrrev_b32_e32 v3, 2, v3
	v_lshrrev_b32_e32 v29, 8, v9
	v_bfe_u32 v37, v9, 20, 11
	s_wait_alu 0xfffd
	v_cndmask_b32_e32 v24, 0x7c00, v22, vcc_lo
	v_cvt_f64_f32_e32 v[22:23], v23
	v_cmp_ne_u32_e32 vcc_lo, 0, v8
	v_cmp_eq_u32_e64 s0, 3, v27
	v_fma_f16 v4, v4, v25, -v18
	v_lshl_or_b32 v14, v14, 9, 0x7c00
	v_cmp_eq_u32_e64 s1, 0x40f, v26
	s_wait_alu 0xfffd
	v_cndmask_b32_e64 v8, 0, 1, vcc_lo
	v_cmp_lt_i32_e32 vcc_lo, 5, v27
	v_cvt_f32_f16_e32 v4, v4
	v_lshrrev_b32_e32 v36, 16, v15
	s_wait_alu 0xf1ff
	v_cndmask_b32_e64 v24, v24, v14, s1
	v_and_or_b32 v27, 0xffe, v29, v8
	s_or_b32 vcc_lo, s0, vcc_lo
	v_sub_nc_u32_e32 v8, 0x3f1, v37
	s_wait_alu 0xfffe
	v_add_co_ci_u32_e32 v18, vcc_lo, 0, v3, vcc_lo
	v_and_or_b32 v3, 0x1ff, v11, v10
	v_cmp_ne_u32_e32 vcc_lo, 0, v20
	v_or_b32_e32 v14, 0x1000, v27
	v_med3_i32 v8, v8, 0, 13
	v_lshrrev_b32_e32 v26, 8, v11
	v_bfe_u32 v29, v11, 20, 11
	s_wait_alu 0xfffd
	v_cndmask_b32_e64 v20, 0, 1, vcc_lo
	v_cmp_ne_u32_e32 vcc_lo, 0, v3
	v_cvt_f64_f32_e32 v[3:4], v4
	v_lshrrev_b32_e32 v10, v8, v14
	v_add_nc_u32_e32 v37, 0xfffffc10, v37
	v_lshl_or_b32 v20, v20, 9, 0x7c00
	s_wait_alu 0xfffd
	v_cndmask_b32_e64 v25, 0, 1, vcc_lo
	v_cmp_gt_i32_e32 vcc_lo, 31, v28
	v_lshlrev_b32_e32 v8, v8, v10
	v_and_or_b32 v24, 0x8000, v36, v24
	s_delay_alu instid0(VALU_DEP_4)
	v_and_or_b32 v25, 0xffe, v26, v25
	v_sub_nc_u32_e32 v26, 0x3f1, v29
	s_wait_alu 0xfffd
	v_cndmask_b32_e32 v18, 0x7c00, v18, vcc_lo
	v_cmp_ne_u32_e32 vcc_lo, v8, v14
	v_mul_f64_e32 v[14:15], s[8:9], v[22:23]
	v_or_b32_e32 v38, 0x1000, v25
	v_med3_i32 v26, v26, 0, 13
	s_wait_alu 0xfffd
	v_cndmask_b32_e64 v8, 0, 1, vcc_lo
	v_cmp_eq_u32_e32 vcc_lo, 0x40f, v28
	v_mad_co_u64_u32 v[22:23], null, s4, 40, v[1:2]
	v_lshrrev_b32_e32 v39, v26, v38
	s_delay_alu instid0(VALU_DEP_4)
	v_or_b32_e32 v10, v10, v8
	s_wait_alu 0xfffd
	v_cndmask_b32_e32 v18, v18, v20, vcc_lo
	v_lshrrev_b32_e32 v20, 16, v21
	v_lshl_or_b32 v21, v37, 12, v27
	v_lshlrev_b32_e32 v26, v26, v39
	v_cmp_gt_i32_e32 vcc_lo, 1, v37
	v_mov_b32_e32 v8, v23
	v_and_or_b32 v18, 0x8000, v20, v18
	v_and_b32_e32 v23, 0xffff, v24
	v_add_nc_u32_e32 v24, 0xfffffc10, v29
	s_wait_alu 0xfffd
	v_cndmask_b32_e32 v10, v21, v10, vcc_lo
	v_cmp_ne_u32_e32 vcc_lo, v26, v38
	v_lshrrev_b32_e32 v26, 16, v19
	v_mad_co_u64_u32 v[20:21], null, s5, 40, v[8:9]
	s_delay_alu instid0(VALU_DEP_4)
	v_and_b32_e32 v8, 7, v10
	s_wait_alu 0xfffd
	v_cndmask_b32_e64 v21, 0, 1, vcc_lo
	v_mul_f64_e32 v[3:4], s[8:9], v[3:4]
	v_mul_f16_e32 v17, v35, v26
	v_lshl_or_b32 v28, v18, 16, v23
	v_lshl_or_b32 v18, v24, 12, v25
	v_or_b32_e32 v16, v39, v21
	v_cmp_gt_i32_e64 s1, 1, v24
	v_fmac_f16_e32 v17, v5, v19
	v_cmp_lt_i32_e32 vcc_lo, 5, v8
	v_cmp_eq_u32_e64 s0, 3, v8
	v_lshrrev_b32_e32 v8, 2, v10
	s_wait_alu 0xf1ff
	v_cndmask_b32_e64 v10, v18, v16, s1
	v_cvt_f32_f16_e32 v16, v17
	v_mov_b32_e32 v23, v20
	s_or_b32 vcc_lo, s0, vcc_lo
	v_and_or_b32 v14, 0x1ff, v15, v14
	s_wait_alu 0xfffe
	v_add_co_ci_u32_e32 v8, vcc_lo, 0, v8, vcc_lo
	v_cmp_ne_u32_e32 vcc_lo, 0, v27
	v_cvt_f64_f32_e32 v[16:17], v16
	v_and_b32_e32 v18, 7, v10
	v_cmp_ne_u32_e64 s0, 0, v14
	v_lshrrev_b32_e32 v10, 2, v10
	s_wait_alu 0xfffd
	v_cndmask_b32_e64 v20, 0, 1, vcc_lo
	v_cmp_gt_i32_e32 vcc_lo, 31, v37
	v_lshrrev_b32_e32 v21, 8, v15
	s_wait_alu 0xf1ff
	v_cndmask_b32_e64 v14, 0, 1, s0
	v_cmp_eq_u32_e64 s0, 3, v18
	v_bfe_u32 v27, v15, 20, 11
	s_wait_alu 0xfffd
	v_cndmask_b32_e32 v8, 0x7c00, v8, vcc_lo
	v_cmp_lt_i32_e32 vcc_lo, 5, v18
	v_mul_f16_e32 v19, v35, v19
	v_lshl_or_b32 v18, v20, 9, 0x7c00
	v_and_or_b32 v14, 0xffe, v21, v14
	v_sub_nc_u32_e32 v20, 0x3f1, v27
	s_or_b32 vcc_lo, s0, vcc_lo
	v_fma_f16 v5, v5, v26, -v19
	s_wait_alu 0xfffe
	v_add_co_ci_u32_e32 v10, vcc_lo, 0, v10, vcc_lo
	v_cmp_ne_u32_e32 vcc_lo, 0, v25
	v_and_or_b32 v3, 0x1ff, v4, v3
	v_or_b32_e32 v21, 0x1000, v14
	v_med3_i32 v20, v20, 0, 13
	v_cvt_f32_f16_e32 v5, v5
	s_wait_alu 0xfffd
	v_cndmask_b32_e64 v19, 0, 1, vcc_lo
	v_cmp_eq_u32_e32 vcc_lo, 0x40f, v37
	v_bfe_u32 v29, v4, 20, 11
	v_lshrrev_b32_e32 v26, v20, v21
	v_lshrrev_b32_e32 v35, 16, v9
	v_lshl_or_b32 v30, v19, 9, 0x7c00
	s_wait_alu 0xfffd
	v_cndmask_b32_e32 v25, v8, v18, vcc_lo
	v_cmp_ne_u32_e32 vcc_lo, 0, v3
	v_lshrrev_b32_e32 v8, 8, v4
	v_lshlrev_b32_e32 v20, v20, v26
	v_cvt_f64_f32_e32 v[18:19], v5
	v_add_nc_u32_e32 v27, 0xfffffc10, v27
	s_wait_alu 0xfffd
	v_cndmask_b32_e64 v3, 0, 1, vcc_lo
	v_cmp_gt_i32_e32 vcc_lo, 31, v24
	v_and_or_b32 v25, 0x8000, v35, v25
	global_store_b32 v[22:23], v28, off
	v_add_nc_u32_e32 v22, 0xfffffc10, v29
	v_and_or_b32 v5, 0xffe, v8, v3
	v_mul_f64_e32 v[8:9], s[8:9], v[16:17]
	s_wait_alu 0xfffd
	v_cndmask_b32_e32 v10, 0x7c00, v10, vcc_lo
	v_cmp_ne_u32_e32 vcc_lo, v20, v21
	v_sub_nc_u32_e32 v3, 0x3f1, v29
	v_or_b32_e32 v16, 0x1000, v5
	v_and_b32_e32 v25, 0xffff, v25
	v_lshl_or_b32 v23, v22, 12, v5
	s_wait_alu 0xfffd
	v_cndmask_b32_e64 v17, 0, 1, vcc_lo
	v_cmp_eq_u32_e32 vcc_lo, 0x40f, v24
	v_med3_i32 v3, v3, 0, 13
	v_lshrrev_b32_e32 v24, 16, v11
	v_cmp_gt_i32_e64 s1, 1, v22
	v_or_b32_e32 v17, v26, v17
	s_wait_alu 0xfffd
	v_cndmask_b32_e32 v20, v10, v30, vcc_lo
	v_lshrrev_b32_e32 v21, v3, v16
	v_mad_co_u64_u32 v[10:11], null, s4, 44, v[1:2]
	v_lshl_or_b32 v26, v27, 12, v14
	v_cmp_gt_i32_e32 vcc_lo, 1, v27
	v_and_or_b32 v20, 0x8000, v24, v20
	s_wait_dscnt 0x0
	v_lshrrev_b32_e32 v24, 16, v12
	v_lshlrev_b32_e32 v30, v3, v21
	s_wait_alu 0xfffd
	v_dual_cndmask_b32 v26, v26, v17 :: v_dual_mov_b32 v3, v11
	s_delay_alu instid0(VALU_DEP_3) | instskip(NEXT) | instid1(VALU_DEP_3)
	v_mul_f16_e32 v11, v34, v24
	v_cmp_ne_u32_e32 vcc_lo, v30, v16
	v_lshl_or_b32 v25, v20, 16, v25
	s_delay_alu instid0(VALU_DEP_4)
	v_and_b32_e32 v17, 7, v26
	v_lshrrev_b32_e32 v20, 2, v26
	v_fmac_f16_e32 v11, v6, v12
	s_wait_alu 0xfffd
	v_cndmask_b32_e64 v16, 0, 1, vcc_lo
	v_cmp_lt_i32_e32 vcc_lo, 5, v17
	v_cmp_eq_u32_e64 s0, 3, v17
	v_cvt_f32_f16_e32 v11, v11
	s_delay_alu instid0(VALU_DEP_4)
	v_or_b32_e32 v21, v21, v16
	v_mul_f64_e32 v[16:17], s[8:9], v[18:19]
	v_and_or_b32 v8, 0x1ff, v9, v8
	s_or_b32 vcc_lo, s0, vcc_lo
	v_cvt_f64_f32_e32 v[18:19], v11
	s_wait_alu 0xfffe
	v_add_co_ci_u32_e32 v11, vcc_lo, 0, v20, vcc_lo
	v_cndmask_b32_e64 v23, v23, v21, s1
	v_cmp_gt_i32_e32 vcc_lo, 31, v27
	v_mad_co_u64_u32 v[20:21], null, s5, 44, v[3:4]
	v_cmp_ne_u32_e64 s0, 0, v8
	s_delay_alu instid0(VALU_DEP_4)
	v_and_b32_e32 v26, 7, v23
	s_wait_alu 0xfffd
	v_cndmask_b32_e32 v3, 0x7c00, v11, vcc_lo
	v_cmp_ne_u32_e32 vcc_lo, 0, v14
	v_lshrrev_b32_e32 v23, 2, v23
	s_wait_alu 0xf1ff
	v_cndmask_b32_e64 v8, 0, 1, s0
	v_cmp_eq_u32_e64 s0, 3, v26
	v_lshrrev_b32_e32 v14, 8, v9
	s_wait_alu 0xfffd
	v_cndmask_b32_e64 v11, 0, 1, vcc_lo
	v_cmp_lt_i32_e32 vcc_lo, 5, v26
	v_bfe_u32 v21, v9, 20, 11
	v_and_or_b32 v8, 0xffe, v14, v8
	s_delay_alu instid0(VALU_DEP_4) | instskip(SKIP_1) | instid1(VALU_DEP_3)
	v_lshl_or_b32 v11, v11, 9, 0x7c00
	s_or_b32 vcc_lo, s0, vcc_lo
	v_sub_nc_u32_e32 v14, 0x3f1, v21
	s_wait_alu 0xfffe
	v_add_co_ci_u32_e32 v23, vcc_lo, 0, v23, vcc_lo
	v_cmp_ne_u32_e32 vcc_lo, 0, v5
	v_or_b32_e32 v26, 0x1000, v8
	v_med3_i32 v28, v14, 0, 13
	v_add_nc_u32_e32 v21, 0xfffffc10, v21
	s_wait_alu 0xfffd
	v_cndmask_b32_e64 v5, 0, 1, vcc_lo
	v_cmp_gt_i32_e32 vcc_lo, 31, v22
	s_delay_alu instid0(VALU_DEP_2)
	v_lshl_or_b32 v5, v5, 9, 0x7c00
	s_wait_alu 0xfffd
	v_cndmask_b32_e32 v14, 0x7c00, v23, vcc_lo
	v_cmp_eq_u32_e32 vcc_lo, 0x40f, v27
	v_lshrrev_b32_e32 v27, 16, v15
	v_and_or_b32 v16, 0x1ff, v17, v16
	v_lshrrev_b32_e32 v23, v28, v26
	s_wait_alu 0xfffd
	v_cndmask_b32_e32 v11, v3, v11, vcc_lo
	v_cmp_eq_u32_e32 vcc_lo, 0x40f, v22
	v_mul_f16_e32 v3, v34, v12
	v_lshrrev_b32_e32 v22, 16, v4
	s_delay_alu instid0(VALU_DEP_4)
	v_and_or_b32 v27, 0x8000, v27, v11
	s_wait_alu 0xfffd
	v_cndmask_b32_e32 v5, v14, v5, vcc_lo
	v_mul_f64_e32 v[14:15], s[8:9], v[18:19]
	v_cmp_ne_u32_e32 vcc_lo, 0, v16
	v_fma_f16 v3, v6, v24, -v3
	v_lshlrev_b32_e32 v18, v28, v23
	v_lshrrev_b32_e32 v16, 8, v17
	v_bfe_u32 v6, v17, 20, 11
	s_wait_alu 0xfffd
	v_cndmask_b32_e64 v12, 0, 1, vcc_lo
	v_cvt_f32_f16_e32 v3, v3
	v_cmp_ne_u32_e32 vcc_lo, v18, v26
	v_mov_b32_e32 v11, v20
	v_sub_nc_u32_e32 v4, 0x3f1, v6
	v_and_or_b32 v16, 0xffe, v16, v12
	v_cvt_f64_f32_e32 v[18:19], v3
	s_wait_alu 0xfffd
	v_cndmask_b32_e64 v12, 0, 1, vcc_lo
	v_cmp_gt_i32_e32 vcc_lo, 1, v21
	v_med3_i32 v26, v4, 0, 13
	v_or_b32_e32 v24, 0x1000, v16
	v_and_or_b32 v5, 0x8000, v22, v5
	v_or_b32_e32 v12, v23, v12
	v_lshl_or_b32 v23, v21, 12, v8
	v_mad_co_u64_u32 v[3:4], null, s4, 48, v[1:2]
	v_lshrrev_b32_e32 v28, v26, v24
	global_store_b32 v[10:11], v25, off
	s_wait_alu 0xfffd
	v_cndmask_b32_e32 v20, v23, v12, vcc_lo
	v_and_b32_e32 v12, 0xffff, v27
	v_lshrrev_b32_e32 v25, 16, v13
	v_lshlrev_b32_e32 v22, v26, v28
	v_lshrrev_b32_e32 v17, 16, v17
	v_and_b32_e32 v23, 7, v20
	v_lshl_or_b32 v5, v5, 16, v12
	s_delay_alu instid0(VALU_DEP_4) | instskip(SKIP_1) | instid1(VALU_DEP_4)
	v_cmp_ne_u32_e32 vcc_lo, v22, v24
	v_add_nc_u32_e32 v22, 0xfffffc10, v6
	v_cmp_eq_u32_e64 s0, 3, v23
	s_delay_alu instid0(VALU_DEP_4)
	v_mad_co_u64_u32 v[10:11], null, s5, 48, v[4:5]
	v_mul_f16_e32 v11, v33, v25
	v_and_or_b32 v6, 0x1ff, v15, v14
	s_wait_alu 0xfffd
	v_cndmask_b32_e64 v4, 0, 1, vcc_lo
	v_lshl_or_b32 v12, v22, 12, v16
	v_cmp_lt_i32_e32 vcc_lo, 5, v23
	v_fmac_f16_e32 v11, v7, v13
	v_cmp_ne_u32_e64 s1, 0, v6
	v_or_b32_e32 v4, v28, v4
	v_lshrrev_b32_e32 v23, 8, v15
	s_or_b32 vcc_lo, s0, vcc_lo
	v_cvt_f32_f16_e32 v14, v11
	v_cndmask_b32_e64 v6, 0, 1, s1
	v_cmp_gt_i32_e64 s1, 1, v22
	v_bfe_u32 v24, v15, 20, 11
	v_mul_f16_e32 v13, v33, v13
	s_delay_alu instid0(VALU_DEP_4)
	v_and_or_b32 v23, 0xffe, v23, v6
	s_wait_alu 0xf1ff
	v_cndmask_b32_e64 v4, v12, v4, s1
	v_mul_f64_e32 v[11:12], s[8:9], v[18:19]
	v_cvt_f64_f32_e32 v[18:19], v14
	v_lshrrev_b32_e32 v14, 2, v20
	v_sub_nc_u32_e32 v6, 0x3f1, v24
	v_and_b32_e32 v20, 7, v4
	v_lshrrev_b32_e32 v4, 2, v4
	v_or_b32_e32 v26, 0x1000, v23
	s_wait_alu 0xfffe
	v_add_co_ci_u32_e32 v14, vcc_lo, 0, v14, vcc_lo
	v_cmp_lt_i32_e32 vcc_lo, 5, v20
	v_cmp_eq_u32_e64 s0, 3, v20
	v_med3_i32 v6, v6, 0, 13
	v_cmp_ne_u32_e64 s1, 0, v8
	v_fma_f16 v7, v7, v25, -v13
	v_add_nc_u32_e32 v20, 0xfffffc10, v24
	s_or_b32 vcc_lo, s0, vcc_lo
	v_lshrrev_b32_e32 v27, v6, v26
	s_wait_alu 0xfffe
	v_add_co_ci_u32_e32 v4, vcc_lo, 0, v4, vcc_lo
	v_cmp_ne_u32_e32 vcc_lo, 0, v16
	v_cndmask_b32_e64 v8, 0, 1, s1
	v_lshlrev_b32_e32 v6, v6, v27
	ds_load_b32 v24, v32 offset:64
	s_wait_alu 0xfffd
	v_cndmask_b32_e64 v16, 0, 1, vcc_lo
	v_cmp_gt_i32_e32 vcc_lo, 31, v21
	v_lshl_or_b32 v8, v8, 9, 0x7c00
	s_delay_alu instid0(VALU_DEP_3)
	v_lshl_or_b32 v16, v16, 9, 0x7c00
	s_wait_alu 0xfffd
	v_cndmask_b32_e32 v14, 0x7c00, v14, vcc_lo
	v_cmp_gt_i32_e32 vcc_lo, 31, v22
	s_wait_alu 0xfffd
	v_cndmask_b32_e32 v4, 0x7c00, v4, vcc_lo
	v_cmp_ne_u32_e32 vcc_lo, v6, v26
	v_and_or_b32 v11, 0x1ff, v12, v11
	s_wait_alu 0xfffd
	v_cndmask_b32_e64 v6, 0, 1, vcc_lo
	v_cmp_eq_u32_e32 vcc_lo, 0x40f, v21
	v_lshl_or_b32 v21, v20, 12, v23
	s_delay_alu instid0(VALU_DEP_3)
	v_or_b32_e32 v13, v27, v6
	s_wait_alu 0xfffd
	v_cndmask_b32_e32 v14, v14, v8, vcc_lo
	v_cmp_eq_u32_e32 vcc_lo, 0x40f, v22
	v_cvt_f32_f16_e32 v8, v7
	v_mul_f64_e32 v[6:7], s[8:9], v[18:19]
	v_lshrrev_b32_e32 v18, 16, v9
	v_lshrrev_b32_e32 v19, 8, v12
	s_wait_alu 0xfffd
	v_cndmask_b32_e32 v16, v4, v16, vcc_lo
	v_cmp_gt_i32_e32 vcc_lo, 1, v20
	v_cvt_f64_f32_e32 v[8:9], v8
	v_and_or_b32 v14, 0x8000, v18, v14
	s_wait_dscnt 0x0
	v_lshrrev_b32_e32 v18, 16, v24
	v_and_or_b32 v16, 0x8000, v17, v16
	s_wait_alu 0xfffd
	v_cndmask_b32_e32 v13, v21, v13, vcc_lo
	v_cmp_ne_u32_e32 vcc_lo, 0, v11
	v_bfe_u32 v21, v12, 20, 11
	v_mov_b32_e32 v4, v10
	v_and_b32_e32 v14, 0xffff, v14
	v_and_b32_e32 v10, 7, v13
	s_wait_alu 0xfffd
	v_cndmask_b32_e64 v11, 0, 1, vcc_lo
	v_lshrrev_b32_e32 v12, 16, v12
	v_lshl_or_b32 v27, v16, 16, v14
	v_cmp_lt_i32_e32 vcc_lo, 5, v10
	s_delay_alu instid0(VALU_DEP_4)
	v_and_or_b32 v22, 0xffe, v19, v11
	v_sub_nc_u32_e32 v11, 0x3f1, v21
	v_mul_f16_e32 v19, v31, v18
	v_cmp_eq_u32_e64 s0, 3, v10
	v_lshrrev_b32_e32 v10, 2, v13
	v_or_b32_e32 v17, 0x1000, v22
	v_med3_i32 v11, v11, 0, 13
	v_fmac_f16_e32 v19, v0, v24
	s_or_b32 vcc_lo, s0, vcc_lo
	v_add_nc_u32_e32 v21, 0xfffffc10, v21
	s_wait_alu 0xfffe
	v_add_co_ci_u32_e32 v26, vcc_lo, 0, v10, vcc_lo
	v_lshrrev_b32_e32 v25, v11, v17
	v_cvt_f32_f16_e32 v19, v19
	s_delay_alu instid0(VALU_DEP_2) | instskip(SKIP_2) | instid1(VALU_DEP_3)
	v_lshlrev_b32_e32 v13, v11, v25
	v_and_or_b32 v6, 0x1ff, v7, v6
	v_mad_co_u64_u32 v[10:11], null, s4, 52, v[1:2]
	v_cmp_ne_u32_e32 vcc_lo, v13, v17
	v_mul_f16_e32 v17, v31, v24
	v_cvt_f64_f32_e32 v[13:14], v19
	v_mul_f64_e32 v[8:9], s[8:9], v[8:9]
	v_lshl_or_b32 v19, v21, 12, v22
	s_wait_alu 0xfffd
	v_cndmask_b32_e64 v16, 0, 1, vcc_lo
	v_cmp_ne_u32_e32 vcc_lo, 0, v6
	v_fma_f16 v0, v0, v18, -v17
	v_lshrrev_b32_e32 v24, 8, v7
	s_delay_alu instid0(VALU_DEP_4)
	v_or_b32_e32 v18, v25, v16
	s_wait_alu 0xfffd
	v_cndmask_b32_e64 v6, 0, 1, vcc_lo
	v_cmp_ne_u32_e32 vcc_lo, 0, v23
	v_cvt_f32_f16_e32 v0, v0
	v_bfe_u32 v25, v7, 20, 11
	v_lshrrev_b32_e32 v7, 16, v7
	v_and_or_b32 v6, 0xffe, v24, v6
	s_wait_alu 0xfffd
	v_cndmask_b32_e64 v23, 0, 1, vcc_lo
	v_cmp_gt_i32_e32 vcc_lo, 1, v21
	v_cvt_f64_f32_e32 v[16:17], v0
	v_sub_nc_u32_e32 v0, 0x3f1, v25
	s_delay_alu instid0(VALU_DEP_4)
	v_lshl_or_b32 v23, v23, 9, 0x7c00
	s_wait_alu 0xfffd
	v_cndmask_b32_e32 v18, v19, v18, vcc_lo
	v_cmp_gt_i32_e32 vcc_lo, 31, v20
	v_med3_i32 v28, v0, 0, 13
	v_mov_b32_e32 v0, v11
	s_delay_alu instid0(VALU_DEP_4)
	v_and_b32_e32 v24, 7, v18
	s_wait_alu 0xfffd
	v_cndmask_b32_e32 v19, 0x7c00, v26, vcc_lo
	v_cmp_eq_u32_e32 vcc_lo, 0x40f, v20
	v_or_b32_e32 v26, 0x1000, v6
	v_lshrrev_b32_e32 v20, 16, v15
	v_cmp_eq_u32_e64 s0, 3, v24
	s_wait_alu 0xfffd
	v_cndmask_b32_e32 v11, v19, v23, vcc_lo
	v_cmp_lt_i32_e32 vcc_lo, 5, v24
	v_lshrrev_b32_e32 v23, 2, v18
	v_lshrrev_b32_e32 v15, v28, v26
	v_mad_co_u64_u32 v[18:19], null, s5, 52, v[0:1]
	s_or_b32 vcc_lo, s0, vcc_lo
	v_mul_f64_e32 v[13:14], s[8:9], v[13:14]
	s_wait_alu 0xfffe
	v_add_co_ci_u32_e32 v19, vcc_lo, 0, v23, vcc_lo
	v_lshlrev_b32_e32 v0, v28, v15
	v_cmp_ne_u32_e32 vcc_lo, 0, v22
	v_and_or_b32 v8, 0x1ff, v9, v8
	v_add_nc_u32_e32 v23, 0xfffffc10, v25
	v_bfe_u32 v25, v9, 20, 11
	v_and_or_b32 v20, 0x8000, v20, v11
	s_wait_alu 0xfffd
	v_cndmask_b32_e64 v22, 0, 1, vcc_lo
	v_cmp_ne_u32_e32 vcc_lo, v0, v26
	v_lshl_or_b32 v24, v23, 12, v6
	v_sub_nc_u32_e32 v11, 0x3f1, v25
	v_and_b32_e32 v20, 0xffff, v20
	v_lshl_or_b32 v22, v22, 9, 0x7c00
	s_wait_alu 0xfffd
	v_cndmask_b32_e64 v0, 0, 1, vcc_lo
	v_cmp_gt_i32_e32 vcc_lo, 31, v21
	s_delay_alu instid0(VALU_DEP_2)
	v_or_b32_e32 v0, v15, v0
	s_wait_alu 0xfffd
	v_cndmask_b32_e32 v19, 0x7c00, v19, vcc_lo
	v_cmp_ne_u32_e32 vcc_lo, 0, v8
	v_mul_f64_e32 v[15:16], s[8:9], v[16:17]
	v_lshrrev_b32_e32 v17, 8, v9
	v_lshrrev_b32_e32 v9, 16, v9
	s_wait_alu 0xfffd
	v_cndmask_b32_e64 v8, 0, 1, vcc_lo
	v_cmp_gt_i32_e32 vcc_lo, 1, v23
	s_delay_alu instid0(VALU_DEP_2) | instskip(SKIP_3) | instid1(VALU_DEP_3)
	v_and_or_b32 v8, 0xffe, v17, v8
	s_wait_alu 0xfffd
	v_cndmask_b32_e32 v0, v24, v0, vcc_lo
	v_cmp_eq_u32_e32 vcc_lo, 0x40f, v21
	v_or_b32_e32 v21, 0x1000, v8
	v_and_or_b32 v13, 0x1ff, v14, v13
	s_wait_alu 0xfffd
	v_cndmask_b32_e32 v17, v19, v22, vcc_lo
	v_and_b32_e32 v19, 7, v0
	v_med3_i32 v22, v11, 0, 13
	v_lshrrev_b32_e32 v0, 2, v0
	v_mov_b32_e32 v11, v18
	v_and_or_b32 v24, 0x8000, v12, v17
	v_cmp_lt_i32_e32 vcc_lo, 5, v19
	v_cmp_eq_u32_e64 s0, 3, v19
	v_lshrrev_b32_e32 v12, v22, v21
	v_mad_co_u64_u32 v[17:18], null, s4, 56, v[1:2]
	v_bfe_u32 v26, v14, 20, 11
	s_delay_alu instid0(VALU_DEP_4) | instskip(NEXT) | instid1(VALU_DEP_3)
	s_or_b32 vcc_lo, s0, vcc_lo
	v_lshlrev_b32_e32 v19, v22, v12
	s_wait_alu 0xfffe
	v_add_co_ci_u32_e32 v22, vcc_lo, 0, v0, vcc_lo
	v_cmp_ne_u32_e32 vcc_lo, 0, v6
	v_mov_b32_e32 v0, v18
	v_lshrrev_b32_e32 v18, 8, v14
	v_lshrrev_b32_e32 v14, 16, v14
	s_wait_alu 0xfffd
	v_cndmask_b32_e64 v6, 0, 1, vcc_lo
	v_cmp_ne_u32_e32 vcc_lo, 0, v13
	v_and_or_b32 v15, 0x1ff, v16, v15
	v_bfe_u32 v29, v16, 20, 11
	s_delay_alu instid0(VALU_DEP_4) | instskip(SKIP_4) | instid1(VALU_DEP_3)
	v_lshl_or_b32 v6, v6, 9, 0x7c00
	s_wait_alu 0xfffd
	v_cndmask_b32_e64 v13, 0, 1, vcc_lo
	v_cmp_gt_i32_e32 vcc_lo, 31, v23
	v_sub_nc_u32_e32 v31, 0x3f1, v29
	v_and_or_b32 v18, 0xffe, v18, v13
	s_wait_alu 0xfffd
	v_cndmask_b32_e32 v22, 0x7c00, v22, vcc_lo
	v_cmp_ne_u32_e32 vcc_lo, v19, v21
	v_sub_nc_u32_e32 v13, 0x3f1, v26
	v_add_nc_u32_e32 v21, 0xfffffc10, v25
	v_or_b32_e32 v25, 0x1000, v18
	s_wait_alu 0xfffd
	v_cndmask_b32_e64 v19, 0, 1, vcc_lo
	v_cmp_ne_u32_e32 vcc_lo, 0, v15
	v_med3_i32 v28, v13, 0, 13
	v_lshrrev_b32_e32 v15, 8, v16
	v_lshrrev_b32_e32 v16, 16, v16
	v_or_b32_e32 v12, v12, v19
	s_wait_alu 0xfffd
	v_cndmask_b32_e64 v13, 0, 1, vcc_lo
	v_lshl_or_b32 v19, v21, 12, v8
	v_cmp_gt_i32_e32 vcc_lo, 1, v21
	v_lshrrev_b32_e32 v30, v28, v25
	s_delay_alu instid0(VALU_DEP_4)
	v_and_or_b32 v15, 0xffe, v15, v13
	s_wait_alu 0xfffd
	v_cndmask_b32_e32 v19, v19, v12, vcc_lo
	v_mad_co_u64_u32 v[12:13], null, s5, 56, v[0:1]
	v_lshlrev_b32_e32 v0, v28, v30
	v_or_b32_e32 v13, 0x1000, v15
	v_med3_i32 v28, v31, 0, 13
	v_cmp_eq_u32_e32 vcc_lo, 0x40f, v23
	v_and_b32_e32 v31, 7, v19
	v_cmp_ne_u32_e64 s0, v0, v25
	v_add_nc_u32_e32 v23, 0xfffffc10, v26
	v_lshrrev_b32_e32 v19, 2, v19
	s_wait_alu 0xfffd
	v_cndmask_b32_e32 v6, v22, v6, vcc_lo
	v_lshrrev_b32_e32 v22, v28, v13
	s_wait_alu 0xf1ff
	v_cndmask_b32_e64 v0, 0, 1, s0
	v_cmp_lt_i32_e32 vcc_lo, 5, v31
	v_cmp_eq_u32_e64 s0, 3, v31
	v_lshl_or_b32 v26, v23, 12, v18
	v_lshlrev_b32_e32 v25, v28, v22
	v_or_b32_e32 v0, v30, v0
	v_and_or_b32 v28, 0x8000, v7, v6
	s_or_b32 vcc_lo, s0, vcc_lo
	s_delay_alu instid0(VALU_DEP_3)
	v_cmp_ne_u32_e64 s1, v25, v13
	s_wait_alu 0xfffe
	v_add_co_ci_u32_e32 v19, vcc_lo, 0, v19, vcc_lo
	v_add_nc_u32_e32 v25, 0xfffffc10, v29
	v_cmp_ne_u32_e32 vcc_lo, 0, v8
	s_wait_alu 0xf1ff
	v_cndmask_b32_e64 v13, 0, 1, s1
	v_cmp_gt_i32_e64 s1, 1, v23
	s_wait_alu 0xfffd
	v_cndmask_b32_e64 v8, 0, 1, vcc_lo
	s_delay_alu instid0(VALU_DEP_3)
	v_or_b32_e32 v13, v22, v13
	s_wait_alu 0xf1ff
	v_cndmask_b32_e64 v0, v26, v0, s1
	v_lshl_or_b32 v22, v25, 12, v15
	v_cmp_gt_i32_e32 vcc_lo, 1, v25
	v_cmp_gt_i32_e64 s1, 31, v21
	v_lshl_or_b32 v8, v8, 9, 0x7c00
	v_and_b32_e32 v26, 7, v0
	v_lshrrev_b32_e32 v0, 2, v0
	s_wait_alu 0xfffd
	v_cndmask_b32_e32 v6, v22, v13, vcc_lo
	s_wait_alu 0xf1ff
	v_cndmask_b32_e64 v13, 0x7c00, v19, s1
	v_cmp_gt_i32_e64 s1, 31, v23
	v_cmp_lt_i32_e32 vcc_lo, 5, v26
	v_cmp_eq_u32_e64 s0, 3, v26
	v_and_b32_e32 v7, 7, v6
	v_lshrrev_b32_e32 v6, 2, v6
	s_delay_alu instid0(VALU_DEP_3) | instskip(NEXT) | instid1(VALU_DEP_2)
	s_or_b32 vcc_lo, s0, vcc_lo
	v_cmp_eq_u32_e64 s0, 3, v7
	s_wait_alu 0xfffe
	v_add_co_ci_u32_e32 v0, vcc_lo, 0, v0, vcc_lo
	v_cmp_ne_u32_e32 vcc_lo, 0, v18
	s_delay_alu instid0(VALU_DEP_2) | instskip(SKIP_3) | instid1(VALU_DEP_2)
	v_cndmask_b32_e64 v0, 0x7c00, v0, s1
	s_wait_alu 0xfffd
	v_cndmask_b32_e64 v18, 0, 1, vcc_lo
	v_cmp_lt_i32_e32 vcc_lo, 5, v7
	v_lshl_or_b32 v18, v18, 9, 0x7c00
	s_or_b32 vcc_lo, s0, vcc_lo
	s_lshl_b64 s[0:1], s[4:5], 6
	s_wait_alu 0xfffe
	v_add_co_ci_u32_e32 v19, vcc_lo, 0, v6, vcc_lo
	v_cmp_ne_u32_e32 vcc_lo, 0, v15
	v_mad_co_u64_u32 v[6:7], null, s4, 60, v[1:2]
	s_wait_alu 0xfffd
	v_cndmask_b32_e64 v15, 0, 1, vcc_lo
	v_cmp_eq_u32_e32 vcc_lo, 0x40f, v23
	s_delay_alu instid0(VALU_DEP_2) | instskip(SKIP_4) | instid1(VALU_DEP_3)
	v_lshl_or_b32 v15, v15, 9, 0x7c00
	s_wait_alu 0xfffd
	v_cndmask_b32_e32 v18, v0, v18, vcc_lo
	v_cmp_gt_i32_e32 vcc_lo, 31, v25
	v_mov_b32_e32 v0, v7
	v_and_or_b32 v14, 0x8000, v14, v18
	s_wait_alu 0xfffd
	v_dual_mov_b32 v18, v12 :: v_dual_cndmask_b32 v19, 0x7c00, v19
	v_cmp_eq_u32_e32 vcc_lo, 0x40f, v21
	s_wait_alu 0xfffd
	v_cndmask_b32_e32 v13, v13, v8, vcc_lo
	v_cmp_eq_u32_e32 vcc_lo, 0x40f, v25
	v_mad_co_u64_u32 v[7:8], null, s5, 60, v[0:1]
	v_and_b32_e32 v8, 0xffff, v28
	s_delay_alu instid0(VALU_DEP_4)
	v_and_or_b32 v0, 0x8000, v9, v13
	s_wait_alu 0xfffd
	v_cndmask_b32_e32 v15, v19, v15, vcc_lo
	v_and_b32_e32 v13, 0xffff, v14
	v_lshl_or_b32 v14, v24, 16, v20
	v_lshl_or_b32 v8, v0, 16, v8
	s_delay_alu instid0(VALU_DEP_4) | instskip(SKIP_3) | instid1(VALU_DEP_3)
	v_and_or_b32 v9, 0x8000, v16, v15
	v_add_co_u32 v0, vcc_lo, v1, s0
	s_wait_alu 0xfffd
	v_add_co_ci_u32_e32 v1, vcc_lo, s1, v2, vcc_lo
	v_lshl_or_b32 v9, v9, 16, v13
	s_clause 0x4
	global_store_b32 v[3:4], v5, off
	global_store_b32 v[10:11], v27, off
	;; [unrolled: 1-line block ×5, first 2 shown]
.LBB0_2:
	s_nop 0
	s_sendmsg sendmsg(MSG_DEALLOC_VGPRS)
	s_endpgm
	.section	.rodata,"a",@progbits
	.p2align	6, 0x0
	.amdhsa_kernel bluestein_single_fwd_len17_dim1_half_op_CI_CI
		.amdhsa_group_segment_fixed_size 8160
		.amdhsa_private_segment_fixed_size 0
		.amdhsa_kernarg_size 104
		.amdhsa_user_sgpr_count 2
		.amdhsa_user_sgpr_dispatch_ptr 0
		.amdhsa_user_sgpr_queue_ptr 0
		.amdhsa_user_sgpr_kernarg_segment_ptr 1
		.amdhsa_user_sgpr_dispatch_id 0
		.amdhsa_user_sgpr_private_segment_size 0
		.amdhsa_wavefront_size32 1
		.amdhsa_uses_dynamic_stack 0
		.amdhsa_enable_private_segment 0
		.amdhsa_system_sgpr_workgroup_id_x 1
		.amdhsa_system_sgpr_workgroup_id_y 0
		.amdhsa_system_sgpr_workgroup_id_z 0
		.amdhsa_system_sgpr_workgroup_info 0
		.amdhsa_system_vgpr_workitem_id 0
		.amdhsa_next_free_vgpr 120
		.amdhsa_next_free_sgpr 18
		.amdhsa_reserve_vcc 1
		.amdhsa_float_round_mode_32 0
		.amdhsa_float_round_mode_16_64 0
		.amdhsa_float_denorm_mode_32 3
		.amdhsa_float_denorm_mode_16_64 3
		.amdhsa_fp16_overflow 0
		.amdhsa_workgroup_processor_mode 1
		.amdhsa_memory_ordered 1
		.amdhsa_forward_progress 0
		.amdhsa_round_robin_scheduling 0
		.amdhsa_exception_fp_ieee_invalid_op 0
		.amdhsa_exception_fp_denorm_src 0
		.amdhsa_exception_fp_ieee_div_zero 0
		.amdhsa_exception_fp_ieee_overflow 0
		.amdhsa_exception_fp_ieee_underflow 0
		.amdhsa_exception_fp_ieee_inexact 0
		.amdhsa_exception_int_div_zero 0
	.end_amdhsa_kernel
	.text
.Lfunc_end0:
	.size	bluestein_single_fwd_len17_dim1_half_op_CI_CI, .Lfunc_end0-bluestein_single_fwd_len17_dim1_half_op_CI_CI
                                        ; -- End function
	.section	.AMDGPU.csdata,"",@progbits
; Kernel info:
; codeLenInByte = 24020
; NumSgprs: 20
; NumVgprs: 120
; ScratchSize: 0
; MemoryBound: 0
; FloatMode: 240
; IeeeMode: 1
; LDSByteSize: 8160 bytes/workgroup (compile time only)
; SGPRBlocks: 2
; VGPRBlocks: 14
; NumSGPRsForWavesPerEU: 20
; NumVGPRsForWavesPerEU: 120
; Occupancy: 12
; WaveLimiterHint : 1
; COMPUTE_PGM_RSRC2:SCRATCH_EN: 0
; COMPUTE_PGM_RSRC2:USER_SGPR: 2
; COMPUTE_PGM_RSRC2:TRAP_HANDLER: 0
; COMPUTE_PGM_RSRC2:TGID_X_EN: 1
; COMPUTE_PGM_RSRC2:TGID_Y_EN: 0
; COMPUTE_PGM_RSRC2:TGID_Z_EN: 0
; COMPUTE_PGM_RSRC2:TIDIG_COMP_CNT: 0
	.text
	.p2alignl 7, 3214868480
	.fill 96, 4, 3214868480
	.type	__hip_cuid_d6e5f596efdc8f1b,@object ; @__hip_cuid_d6e5f596efdc8f1b
	.section	.bss,"aw",@nobits
	.globl	__hip_cuid_d6e5f596efdc8f1b
__hip_cuid_d6e5f596efdc8f1b:
	.byte	0                               ; 0x0
	.size	__hip_cuid_d6e5f596efdc8f1b, 1

	.ident	"AMD clang version 19.0.0git (https://github.com/RadeonOpenCompute/llvm-project roc-6.4.0 25133 c7fe45cf4b819c5991fe208aaa96edf142730f1d)"
	.section	".note.GNU-stack","",@progbits
	.addrsig
	.addrsig_sym __hip_cuid_d6e5f596efdc8f1b
	.amdgpu_metadata
---
amdhsa.kernels:
  - .args:
      - .actual_access:  read_only
        .address_space:  global
        .offset:         0
        .size:           8
        .value_kind:     global_buffer
      - .actual_access:  read_only
        .address_space:  global
        .offset:         8
        .size:           8
        .value_kind:     global_buffer
      - .actual_access:  read_only
        .address_space:  global
        .offset:         16
        .size:           8
        .value_kind:     global_buffer
      - .actual_access:  read_only
        .address_space:  global
        .offset:         24
        .size:           8
        .value_kind:     global_buffer
      - .actual_access:  read_only
        .address_space:  global
        .offset:         32
        .size:           8
        .value_kind:     global_buffer
      - .offset:         40
        .size:           8
        .value_kind:     by_value
      - .address_space:  global
        .offset:         48
        .size:           8
        .value_kind:     global_buffer
      - .address_space:  global
        .offset:         56
        .size:           8
        .value_kind:     global_buffer
      - .address_space:  global
        .offset:         64
        .size:           8
        .value_kind:     global_buffer
      - .address_space:  global
        .offset:         72
        .size:           8
        .value_kind:     global_buffer
      - .offset:         80
        .size:           4
        .value_kind:     by_value
      - .address_space:  global
        .offset:         88
        .size:           8
        .value_kind:     global_buffer
      - .address_space:  global
        .offset:         96
        .size:           8
        .value_kind:     global_buffer
    .group_segment_fixed_size: 8160
    .kernarg_segment_align: 8
    .kernarg_segment_size: 104
    .language:       OpenCL C
    .language_version:
      - 2
      - 0
    .max_flat_workgroup_size: 120
    .name:           bluestein_single_fwd_len17_dim1_half_op_CI_CI
    .private_segment_fixed_size: 0
    .sgpr_count:     20
    .sgpr_spill_count: 0
    .symbol:         bluestein_single_fwd_len17_dim1_half_op_CI_CI.kd
    .uniform_work_group_size: 1
    .uses_dynamic_stack: false
    .vgpr_count:     120
    .vgpr_spill_count: 0
    .wavefront_size: 32
    .workgroup_processor_mode: 1
amdhsa.target:   amdgcn-amd-amdhsa--gfx1201
amdhsa.version:
  - 1
  - 2
...

	.end_amdgpu_metadata
